;; amdgpu-corpus repo=ROCm/rocFFT kind=compiled arch=gfx1100 opt=O3
	.text
	.amdgcn_target "amdgcn-amd-amdhsa--gfx1100"
	.amdhsa_code_object_version 6
	.protected	fft_rtc_back_len2700_factors_3_10_10_3_3_wgs_90_tpt_90_halfLds_dp_op_CI_CI_unitstride_sbrr_R2C_dirReg ; -- Begin function fft_rtc_back_len2700_factors_3_10_10_3_3_wgs_90_tpt_90_halfLds_dp_op_CI_CI_unitstride_sbrr_R2C_dirReg
	.globl	fft_rtc_back_len2700_factors_3_10_10_3_3_wgs_90_tpt_90_halfLds_dp_op_CI_CI_unitstride_sbrr_R2C_dirReg
	.p2align	8
	.type	fft_rtc_back_len2700_factors_3_10_10_3_3_wgs_90_tpt_90_halfLds_dp_op_CI_CI_unitstride_sbrr_R2C_dirReg,@function
fft_rtc_back_len2700_factors_3_10_10_3_3_wgs_90_tpt_90_halfLds_dp_op_CI_CI_unitstride_sbrr_R2C_dirReg: ; @fft_rtc_back_len2700_factors_3_10_10_3_3_wgs_90_tpt_90_halfLds_dp_op_CI_CI_unitstride_sbrr_R2C_dirReg
; %bb.0:
	s_clause 0x2
	s_load_b128 s[8:11], s[0:1], 0x0
	s_load_b128 s[4:7], s[0:1], 0x58
	;; [unrolled: 1-line block ×3, first 2 shown]
	v_mul_u32_u24_e32 v1, 0x2d9, v0
	v_mov_b32_e32 v3, 0
	s_delay_alu instid0(VALU_DEP_2) | instskip(NEXT) | instid1(VALU_DEP_1)
	v_lshrrev_b32_e32 v1, 16, v1
	v_add_nc_u32_e32 v5, s15, v1
	v_mov_b32_e32 v1, 0
	v_mov_b32_e32 v2, 0
	;; [unrolled: 1-line block ×3, first 2 shown]
	s_waitcnt lgkmcnt(0)
	v_cmp_lt_u64_e64 s2, s[10:11], 2
	s_delay_alu instid0(VALU_DEP_1)
	s_and_b32 vcc_lo, exec_lo, s2
	s_cbranch_vccnz .LBB0_8
; %bb.1:
	s_load_b64 s[2:3], s[0:1], 0x10
	v_mov_b32_e32 v1, 0
	v_mov_b32_e32 v2, 0
	s_add_u32 s12, s18, 8
	s_addc_u32 s13, s19, 0
	s_add_u32 s14, s16, 8
	s_addc_u32 s15, s17, 0
	v_dual_mov_b32 v131, v2 :: v_dual_mov_b32 v130, v1
	s_mov_b64 s[22:23], 1
	s_waitcnt lgkmcnt(0)
	s_add_u32 s20, s2, 8
	s_addc_u32 s21, s3, 0
.LBB0_2:                                ; =>This Inner Loop Header: Depth=1
	s_load_b64 s[24:25], s[20:21], 0x0
                                        ; implicit-def: $vgpr134_vgpr135
	s_mov_b32 s2, exec_lo
	s_waitcnt lgkmcnt(0)
	v_or_b32_e32 v4, s25, v6
	s_delay_alu instid0(VALU_DEP_1)
	v_cmpx_ne_u64_e32 0, v[3:4]
	s_xor_b32 s3, exec_lo, s2
	s_cbranch_execz .LBB0_4
; %bb.3:                                ;   in Loop: Header=BB0_2 Depth=1
	v_cvt_f32_u32_e32 v4, s24
	v_cvt_f32_u32_e32 v7, s25
	s_sub_u32 s2, 0, s24
	s_subb_u32 s26, 0, s25
	s_delay_alu instid0(VALU_DEP_1) | instskip(NEXT) | instid1(VALU_DEP_1)
	v_fmac_f32_e32 v4, 0x4f800000, v7
	v_rcp_f32_e32 v4, v4
	s_waitcnt_depctr 0xfff
	v_mul_f32_e32 v4, 0x5f7ffffc, v4
	s_delay_alu instid0(VALU_DEP_1) | instskip(NEXT) | instid1(VALU_DEP_1)
	v_mul_f32_e32 v7, 0x2f800000, v4
	v_trunc_f32_e32 v7, v7
	s_delay_alu instid0(VALU_DEP_1) | instskip(SKIP_1) | instid1(VALU_DEP_2)
	v_fmac_f32_e32 v4, 0xcf800000, v7
	v_cvt_u32_f32_e32 v7, v7
	v_cvt_u32_f32_e32 v4, v4
	s_delay_alu instid0(VALU_DEP_2) | instskip(NEXT) | instid1(VALU_DEP_2)
	v_mul_lo_u32 v8, s2, v7
	v_mul_hi_u32 v9, s2, v4
	v_mul_lo_u32 v10, s26, v4
	s_delay_alu instid0(VALU_DEP_2) | instskip(SKIP_1) | instid1(VALU_DEP_2)
	v_add_nc_u32_e32 v8, v9, v8
	v_mul_lo_u32 v9, s2, v4
	v_add_nc_u32_e32 v8, v8, v10
	s_delay_alu instid0(VALU_DEP_2) | instskip(NEXT) | instid1(VALU_DEP_2)
	v_mul_hi_u32 v10, v4, v9
	v_mul_lo_u32 v11, v4, v8
	v_mul_hi_u32 v12, v4, v8
	v_mul_hi_u32 v13, v7, v9
	v_mul_lo_u32 v9, v7, v9
	v_mul_hi_u32 v14, v7, v8
	v_mul_lo_u32 v8, v7, v8
	v_add_co_u32 v10, vcc_lo, v10, v11
	v_add_co_ci_u32_e32 v11, vcc_lo, 0, v12, vcc_lo
	s_delay_alu instid0(VALU_DEP_2) | instskip(NEXT) | instid1(VALU_DEP_2)
	v_add_co_u32 v9, vcc_lo, v10, v9
	v_add_co_ci_u32_e32 v9, vcc_lo, v11, v13, vcc_lo
	v_add_co_ci_u32_e32 v10, vcc_lo, 0, v14, vcc_lo
	s_delay_alu instid0(VALU_DEP_2) | instskip(NEXT) | instid1(VALU_DEP_2)
	v_add_co_u32 v8, vcc_lo, v9, v8
	v_add_co_ci_u32_e32 v9, vcc_lo, 0, v10, vcc_lo
	s_delay_alu instid0(VALU_DEP_2) | instskip(NEXT) | instid1(VALU_DEP_2)
	v_add_co_u32 v4, vcc_lo, v4, v8
	v_add_co_ci_u32_e32 v7, vcc_lo, v7, v9, vcc_lo
	s_delay_alu instid0(VALU_DEP_2) | instskip(SKIP_1) | instid1(VALU_DEP_3)
	v_mul_hi_u32 v8, s2, v4
	v_mul_lo_u32 v10, s26, v4
	v_mul_lo_u32 v9, s2, v7
	s_delay_alu instid0(VALU_DEP_1) | instskip(SKIP_1) | instid1(VALU_DEP_2)
	v_add_nc_u32_e32 v8, v8, v9
	v_mul_lo_u32 v9, s2, v4
	v_add_nc_u32_e32 v8, v8, v10
	s_delay_alu instid0(VALU_DEP_2) | instskip(NEXT) | instid1(VALU_DEP_2)
	v_mul_hi_u32 v10, v4, v9
	v_mul_lo_u32 v11, v4, v8
	v_mul_hi_u32 v12, v4, v8
	v_mul_hi_u32 v13, v7, v9
	v_mul_lo_u32 v9, v7, v9
	v_mul_hi_u32 v14, v7, v8
	v_mul_lo_u32 v8, v7, v8
	v_add_co_u32 v10, vcc_lo, v10, v11
	v_add_co_ci_u32_e32 v11, vcc_lo, 0, v12, vcc_lo
	s_delay_alu instid0(VALU_DEP_2) | instskip(NEXT) | instid1(VALU_DEP_2)
	v_add_co_u32 v9, vcc_lo, v10, v9
	v_add_co_ci_u32_e32 v9, vcc_lo, v11, v13, vcc_lo
	v_add_co_ci_u32_e32 v10, vcc_lo, 0, v14, vcc_lo
	s_delay_alu instid0(VALU_DEP_2) | instskip(NEXT) | instid1(VALU_DEP_2)
	v_add_co_u32 v8, vcc_lo, v9, v8
	v_add_co_ci_u32_e32 v9, vcc_lo, 0, v10, vcc_lo
	s_delay_alu instid0(VALU_DEP_2) | instskip(NEXT) | instid1(VALU_DEP_2)
	v_add_co_u32 v4, vcc_lo, v4, v8
	v_add_co_ci_u32_e32 v13, vcc_lo, v7, v9, vcc_lo
	s_delay_alu instid0(VALU_DEP_2) | instskip(SKIP_1) | instid1(VALU_DEP_3)
	v_mul_hi_u32 v14, v5, v4
	v_mad_u64_u32 v[9:10], null, v6, v4, 0
	v_mad_u64_u32 v[7:8], null, v5, v13, 0
	;; [unrolled: 1-line block ×3, first 2 shown]
	s_delay_alu instid0(VALU_DEP_2) | instskip(NEXT) | instid1(VALU_DEP_3)
	v_add_co_u32 v4, vcc_lo, v14, v7
	v_add_co_ci_u32_e32 v7, vcc_lo, 0, v8, vcc_lo
	s_delay_alu instid0(VALU_DEP_2) | instskip(NEXT) | instid1(VALU_DEP_2)
	v_add_co_u32 v4, vcc_lo, v4, v9
	v_add_co_ci_u32_e32 v4, vcc_lo, v7, v10, vcc_lo
	v_add_co_ci_u32_e32 v7, vcc_lo, 0, v12, vcc_lo
	s_delay_alu instid0(VALU_DEP_2) | instskip(NEXT) | instid1(VALU_DEP_2)
	v_add_co_u32 v4, vcc_lo, v4, v11
	v_add_co_ci_u32_e32 v9, vcc_lo, 0, v7, vcc_lo
	s_delay_alu instid0(VALU_DEP_2) | instskip(SKIP_1) | instid1(VALU_DEP_3)
	v_mul_lo_u32 v10, s25, v4
	v_mad_u64_u32 v[7:8], null, s24, v4, 0
	v_mul_lo_u32 v11, s24, v9
	s_delay_alu instid0(VALU_DEP_2) | instskip(NEXT) | instid1(VALU_DEP_2)
	v_sub_co_u32 v7, vcc_lo, v5, v7
	v_add3_u32 v8, v8, v11, v10
	s_delay_alu instid0(VALU_DEP_1) | instskip(NEXT) | instid1(VALU_DEP_1)
	v_sub_nc_u32_e32 v10, v6, v8
	v_subrev_co_ci_u32_e64 v10, s2, s25, v10, vcc_lo
	v_add_co_u32 v11, s2, v4, 2
	s_delay_alu instid0(VALU_DEP_1) | instskip(SKIP_3) | instid1(VALU_DEP_3)
	v_add_co_ci_u32_e64 v12, s2, 0, v9, s2
	v_sub_co_u32 v13, s2, v7, s24
	v_sub_co_ci_u32_e32 v8, vcc_lo, v6, v8, vcc_lo
	v_subrev_co_ci_u32_e64 v10, s2, 0, v10, s2
	v_cmp_le_u32_e32 vcc_lo, s24, v13
	s_delay_alu instid0(VALU_DEP_3) | instskip(SKIP_1) | instid1(VALU_DEP_4)
	v_cmp_eq_u32_e64 s2, s25, v8
	v_cndmask_b32_e64 v13, 0, -1, vcc_lo
	v_cmp_le_u32_e32 vcc_lo, s25, v10
	v_cndmask_b32_e64 v14, 0, -1, vcc_lo
	v_cmp_le_u32_e32 vcc_lo, s24, v7
	;; [unrolled: 2-line block ×3, first 2 shown]
	v_cndmask_b32_e64 v15, 0, -1, vcc_lo
	v_cmp_eq_u32_e32 vcc_lo, s25, v10
	s_delay_alu instid0(VALU_DEP_2) | instskip(SKIP_3) | instid1(VALU_DEP_3)
	v_cndmask_b32_e64 v7, v15, v7, s2
	v_cndmask_b32_e32 v10, v14, v13, vcc_lo
	v_add_co_u32 v13, vcc_lo, v4, 1
	v_add_co_ci_u32_e32 v14, vcc_lo, 0, v9, vcc_lo
	v_cmp_ne_u32_e32 vcc_lo, 0, v10
	s_delay_alu instid0(VALU_DEP_2) | instskip(NEXT) | instid1(VALU_DEP_4)
	v_cndmask_b32_e32 v8, v14, v12, vcc_lo
	v_cndmask_b32_e32 v10, v13, v11, vcc_lo
	v_cmp_ne_u32_e32 vcc_lo, 0, v7
	s_delay_alu instid0(VALU_DEP_2)
	v_dual_cndmask_b32 v135, v9, v8 :: v_dual_cndmask_b32 v134, v4, v10
.LBB0_4:                                ;   in Loop: Header=BB0_2 Depth=1
	s_and_not1_saveexec_b32 s2, s3
	s_cbranch_execz .LBB0_6
; %bb.5:                                ;   in Loop: Header=BB0_2 Depth=1
	v_cvt_f32_u32_e32 v4, s24
	s_sub_i32 s3, 0, s24
	v_mov_b32_e32 v135, v3
	s_delay_alu instid0(VALU_DEP_2) | instskip(SKIP_2) | instid1(VALU_DEP_1)
	v_rcp_iflag_f32_e32 v4, v4
	s_waitcnt_depctr 0xfff
	v_mul_f32_e32 v4, 0x4f7ffffe, v4
	v_cvt_u32_f32_e32 v4, v4
	s_delay_alu instid0(VALU_DEP_1) | instskip(NEXT) | instid1(VALU_DEP_1)
	v_mul_lo_u32 v7, s3, v4
	v_mul_hi_u32 v7, v4, v7
	s_delay_alu instid0(VALU_DEP_1) | instskip(NEXT) | instid1(VALU_DEP_1)
	v_add_nc_u32_e32 v4, v4, v7
	v_mul_hi_u32 v4, v5, v4
	s_delay_alu instid0(VALU_DEP_1) | instskip(SKIP_1) | instid1(VALU_DEP_2)
	v_mul_lo_u32 v7, v4, s24
	v_add_nc_u32_e32 v8, 1, v4
	v_sub_nc_u32_e32 v7, v5, v7
	s_delay_alu instid0(VALU_DEP_1) | instskip(SKIP_1) | instid1(VALU_DEP_2)
	v_subrev_nc_u32_e32 v9, s24, v7
	v_cmp_le_u32_e32 vcc_lo, s24, v7
	v_dual_cndmask_b32 v7, v7, v9 :: v_dual_cndmask_b32 v4, v4, v8
	s_delay_alu instid0(VALU_DEP_1) | instskip(NEXT) | instid1(VALU_DEP_2)
	v_cmp_le_u32_e32 vcc_lo, s24, v7
	v_add_nc_u32_e32 v8, 1, v4
	s_delay_alu instid0(VALU_DEP_1)
	v_cndmask_b32_e32 v134, v4, v8, vcc_lo
.LBB0_6:                                ;   in Loop: Header=BB0_2 Depth=1
	s_or_b32 exec_lo, exec_lo, s2
	s_delay_alu instid0(VALU_DEP_1) | instskip(NEXT) | instid1(VALU_DEP_2)
	v_mul_lo_u32 v4, v135, s24
	v_mul_lo_u32 v9, v134, s25
	s_load_b64 s[2:3], s[14:15], 0x0
	v_mad_u64_u32 v[7:8], null, v134, s24, 0
	s_load_b64 s[24:25], s[12:13], 0x0
	s_add_u32 s22, s22, 1
	s_addc_u32 s23, s23, 0
	s_add_u32 s12, s12, 8
	s_addc_u32 s13, s13, 0
	s_add_u32 s14, s14, 8
	s_delay_alu instid0(VALU_DEP_1) | instskip(SKIP_3) | instid1(VALU_DEP_2)
	v_add3_u32 v4, v8, v9, v4
	v_sub_co_u32 v8, vcc_lo, v5, v7
	s_addc_u32 s15, s15, 0
	s_add_u32 s20, s20, 8
	v_sub_co_ci_u32_e32 v6, vcc_lo, v6, v4, vcc_lo
	s_addc_u32 s21, s21, 0
	s_waitcnt lgkmcnt(0)
	s_delay_alu instid0(VALU_DEP_1)
	v_mul_lo_u32 v9, s2, v6
	v_mul_lo_u32 v10, s3, v8
	v_mad_u64_u32 v[4:5], null, s2, v8, v[1:2]
	v_mul_lo_u32 v11, s24, v6
	v_mul_lo_u32 v12, s25, v8
	v_mad_u64_u32 v[6:7], null, s24, v8, v[130:131]
	v_cmp_ge_u64_e64 s2, s[22:23], s[10:11]
	v_add3_u32 v2, v10, v5, v9
	s_delay_alu instid0(VALU_DEP_3) | instskip(NEXT) | instid1(VALU_DEP_4)
	v_dual_mov_b32 v1, v4 :: v_dual_mov_b32 v130, v6
	v_add3_u32 v131, v12, v7, v11
	s_delay_alu instid0(VALU_DEP_4)
	s_and_b32 vcc_lo, exec_lo, s2
	s_cbranch_vccnz .LBB0_9
; %bb.7:                                ;   in Loop: Header=BB0_2 Depth=1
	v_dual_mov_b32 v5, v134 :: v_dual_mov_b32 v6, v135
	s_branch .LBB0_2
.LBB0_8:
	v_dual_mov_b32 v131, v2 :: v_dual_mov_b32 v130, v1
	v_dual_mov_b32 v135, v6 :: v_dual_mov_b32 v134, v5
.LBB0_9:
	s_load_b64 s[0:1], s[0:1], 0x28
	v_mul_hi_u32 v3, 0x2d82d83, v0
	s_lshl_b64 s[10:11], s[10:11], 3
                                        ; implicit-def: $vgpr128
                                        ; implicit-def: $vgpr132
                                        ; implicit-def: $vgpr143
                                        ; implicit-def: $vgpr142
                                        ; implicit-def: $vgpr141
                                        ; implicit-def: $vgpr140
                                        ; implicit-def: $vgpr139
                                        ; implicit-def: $vgpr138
                                        ; implicit-def: $vgpr137
                                        ; implicit-def: $vgpr136
	s_delay_alu instid0(SALU_CYCLE_1) | instskip(SKIP_4) | instid1(VALU_DEP_1)
	s_add_u32 s2, s18, s10
	s_addc_u32 s3, s19, s11
	s_waitcnt lgkmcnt(0)
	v_cmp_gt_u64_e32 vcc_lo, s[0:1], v[134:135]
	v_cmp_le_u64_e64 s0, s[0:1], v[134:135]
	s_and_saveexec_b32 s1, s0
	s_delay_alu instid0(SALU_CYCLE_1)
	s_xor_b32 s0, exec_lo, s1
; %bb.10:
	v_mul_u32_u24_e32 v1, 0x5a, v3
                                        ; implicit-def: $vgpr3
	s_delay_alu instid0(VALU_DEP_1) | instskip(NEXT) | instid1(VALU_DEP_1)
	v_sub_nc_u32_e32 v128, v0, v1
                                        ; implicit-def: $vgpr0
                                        ; implicit-def: $vgpr1_vgpr2
	v_add_nc_u32_e32 v132, 0x5a, v128
	v_add_nc_u32_e32 v143, 0xb4, v128
	;; [unrolled: 1-line block ×9, first 2 shown]
; %bb.11:
	s_and_not1_saveexec_b32 s1, s0
	s_cbranch_execz .LBB0_13
; %bb.12:
	s_add_u32 s10, s16, s10
	s_addc_u32 s11, s17, s11
	v_lshlrev_b64 v[1:2], 4, v[1:2]
	s_load_b64 s[10:11], s[10:11], 0x0
	s_waitcnt lgkmcnt(0)
	v_mul_lo_u32 v6, s11, v134
	v_mul_lo_u32 v7, s10, v135
	v_mad_u64_u32 v[4:5], null, s10, v134, 0
	s_delay_alu instid0(VALU_DEP_1) | instskip(SKIP_1) | instid1(VALU_DEP_2)
	v_add3_u32 v5, v5, v7, v6
	v_mul_u32_u24_e32 v6, 0x5a, v3
	v_lshlrev_b64 v[3:4], 4, v[4:5]
	s_delay_alu instid0(VALU_DEP_2) | instskip(NEXT) | instid1(VALU_DEP_1)
	v_sub_nc_u32_e32 v128, v0, v6
	v_lshlrev_b32_e32 v120, 4, v128
	s_delay_alu instid0(VALU_DEP_3) | instskip(NEXT) | instid1(VALU_DEP_1)
	v_add_co_u32 v0, s0, s4, v3
	v_add_co_ci_u32_e64 v3, s0, s5, v4, s0
	v_add_nc_u32_e32 v132, 0x5a, v128
	s_delay_alu instid0(VALU_DEP_3) | instskip(NEXT) | instid1(VALU_DEP_1)
	v_add_co_u32 v0, s0, v0, v1
	v_add_co_ci_u32_e64 v1, s0, v3, v2, s0
	v_add_nc_u32_e32 v143, 0xb4, v128
	;; [unrolled: 4-line block ×3, first 2 shown]
	s_delay_alu instid0(VALU_DEP_3) | instskip(NEXT) | instid1(VALU_DEP_1)
	v_add_co_u32 v16, s0, 0x1000, v112
	v_add_co_ci_u32_e64 v17, s0, 0, v113, s0
	v_add_co_u32 v28, s0, 0x2000, v112
	s_delay_alu instid0(VALU_DEP_1) | instskip(SKIP_1) | instid1(VALU_DEP_1)
	v_add_co_ci_u32_e64 v29, s0, 0, v113, s0
	v_add_co_u32 v40, s0, 0x3000, v112
	v_add_co_ci_u32_e64 v41, s0, 0, v113, s0
	v_add_co_u32 v52, s0, 0x4000, v112
	s_delay_alu instid0(VALU_DEP_1) | instskip(SKIP_1) | instid1(VALU_DEP_1)
	v_add_co_ci_u32_e64 v53, s0, 0, v113, s0
	;; [unrolled: 5-line block ×4, first 2 shown]
	v_add_co_u32 v108, s0, 0x9000, v112
	v_add_co_ci_u32_e64 v109, s0, 0, v113, s0
	v_add_co_u32 v116, s0, 0xa000, v112
	s_delay_alu instid0(VALU_DEP_1)
	v_add_co_ci_u32_e64 v117, s0, 0, v113, s0
	s_clause 0x1d
	global_load_b128 v[0:3], v[112:113], off offset:1440
	global_load_b128 v[4:7], v[112:113], off offset:2880
	;; [unrolled: 1-line block ×28, first 2 shown]
	global_load_b128 v[112:115], v[112:113], off
	global_load_b128 v[116:119], v[116:117], off offset:800
	v_add_nc_u32_e32 v141, 0x168, v128
	v_add_nc_u32_e32 v140, 0x1c2, v128
	;; [unrolled: 1-line block ×7, first 2 shown]
	s_waitcnt vmcnt(29)
	ds_store_b128 v120, v[0:3] offset:1440
	s_waitcnt vmcnt(28)
	ds_store_b128 v120, v[4:7] offset:2880
	s_waitcnt vmcnt(27)
	ds_store_b128 v120, v[8:11] offset:4320
	s_waitcnt vmcnt(26)
	ds_store_b128 v120, v[12:15] offset:5760
	s_waitcnt vmcnt(25)
	ds_store_b128 v120, v[16:19] offset:7200
	s_waitcnt vmcnt(24)
	ds_store_b128 v120, v[20:23] offset:8640
	s_waitcnt vmcnt(23)
	ds_store_b128 v120, v[24:27] offset:10080
	s_waitcnt vmcnt(22)
	ds_store_b128 v120, v[28:31] offset:11520
	s_waitcnt vmcnt(21)
	ds_store_b128 v120, v[32:35] offset:12960
	s_waitcnt vmcnt(20)
	ds_store_b128 v120, v[36:39] offset:14400
	s_waitcnt vmcnt(19)
	ds_store_b128 v120, v[40:43] offset:15840
	s_waitcnt vmcnt(18)
	ds_store_b128 v120, v[44:47] offset:17280
	s_waitcnt vmcnt(17)
	ds_store_b128 v120, v[48:51] offset:18720
	s_waitcnt vmcnt(16)
	ds_store_b128 v120, v[52:55] offset:20160
	s_waitcnt vmcnt(15)
	ds_store_b128 v120, v[56:59] offset:21600
	s_waitcnt vmcnt(14)
	ds_store_b128 v120, v[60:63] offset:23040
	s_waitcnt vmcnt(13)
	ds_store_b128 v120, v[64:67] offset:24480
	s_waitcnt vmcnt(12)
	ds_store_b128 v120, v[68:71] offset:25920
	s_waitcnt vmcnt(11)
	ds_store_b128 v120, v[72:75] offset:27360
	s_waitcnt vmcnt(10)
	ds_store_b128 v120, v[76:79] offset:28800
	s_waitcnt vmcnt(9)
	ds_store_b128 v120, v[80:83] offset:30240
	s_waitcnt vmcnt(8)
	ds_store_b128 v120, v[84:87] offset:31680
	s_waitcnt vmcnt(7)
	ds_store_b128 v120, v[88:91] offset:33120
	s_waitcnt vmcnt(6)
	ds_store_b128 v120, v[92:95] offset:34560
	s_waitcnt vmcnt(5)
	ds_store_b128 v120, v[96:99] offset:36000
	s_waitcnt vmcnt(4)
	ds_store_b128 v120, v[100:103] offset:37440
	s_waitcnt vmcnt(3)
	ds_store_b128 v120, v[104:107] offset:38880
	s_waitcnt vmcnt(2)
	ds_store_b128 v120, v[108:111] offset:40320
	s_waitcnt vmcnt(1)
	ds_store_b128 v120, v[112:115]
	s_waitcnt vmcnt(0)
	ds_store_b128 v120, v[116:119] offset:41760
.LBB0_13:
	s_or_b32 exec_lo, exec_lo, s1
	v_lshlrev_b32_e32 v129, 4, v128
	s_load_b64 s[2:3], s[2:3], 0x0
	s_waitcnt lgkmcnt(0)
	s_barrier
	buffer_gl0_inv
	v_add_nc_u32_e32 v208, 0, v129
	s_mov_b32 s4, 0xe8584caa
	s_mov_b32 s5, 0xbfebb67a
	;; [unrolled: 1-line block ×4, first 2 shown]
	ds_load_b128 v[16:19], v208
	ds_load_b128 v[8:11], v208 offset:14400
	ds_load_b128 v[12:15], v208 offset:15840
	ds_load_b128 v[4:7], v208 offset:1440
	ds_load_b128 v[0:3], v208 offset:2880
	ds_load_b128 v[20:23], v208 offset:17280
	ds_load_b128 v[24:27], v208 offset:18720
	ds_load_b128 v[32:35], v208 offset:4320
	ds_load_b128 v[28:31], v208 offset:12960
	ds_load_b128 v[36:39], v208 offset:28800
	ds_load_b128 v[40:43], v208 offset:41760
	ds_load_b128 v[44:47], v208 offset:30240
	ds_load_b128 v[48:51], v208 offset:31680
	ds_load_b128 v[52:55], v208 offset:27360
	ds_load_b128 v[56:59], v208 offset:5760
	ds_load_b128 v[60:63], v208 offset:20160
	ds_load_b128 v[64:67], v208 offset:7200
	ds_load_b128 v[68:71], v208 offset:8640
	ds_load_b128 v[72:75], v208 offset:21600
	ds_load_b128 v[76:79], v208 offset:23040
	ds_load_b128 v[80:83], v208 offset:33120
	ds_load_b128 v[84:87], v208 offset:34560
	s_waitcnt lgkmcnt(20)
	v_add_f64 v[104:105], v[16:17], v[8:9]
	v_add_f64 v[106:107], v[18:19], v[10:11]
	s_waitcnt lgkmcnt(18)
	v_add_f64 v[110:111], v[6:7], v[14:15]
	v_add_f64 v[108:109], v[4:5], v[12:13]
	;; [unrolled: 3-line block ×5, first 2 shown]
	ds_load_b128 v[88:91], v208 offset:10080
	ds_load_b128 v[92:95], v208 offset:11520
	;; [unrolled: 1-line block ×4, first 2 shown]
	s_waitcnt lgkmcnt(14)
	v_add_f64 v[152:153], v[12:13], v[44:45]
	v_add_f64 v[156:157], v[14:15], v[46:47]
	s_waitcnt lgkmcnt(10)
	v_add_f64 v[124:125], v[56:57], v[60:61]
	v_add_f64 v[126:127], v[58:59], v[62:63]
	v_add_f64 v[144:145], v[10:11], -v[38:39]
	s_waitcnt lgkmcnt(7)
	v_add_f64 v[150:151], v[66:67], v[74:75]
	v_add_f64 v[146:147], v[64:65], v[72:73]
	s_waitcnt lgkmcnt(6)
	v_add_f64 v[162:163], v[68:69], v[76:77]
	v_add_f64 v[164:165], v[70:71], v[78:79]
	v_add_f64 v[148:149], v[8:9], -v[36:37]
	v_add_f64 v[154:155], v[14:15], -v[46:47]
	v_add_f64 v[160:161], v[20:21], v[48:49]
	v_add_f64 v[168:169], v[22:23], v[50:51]
	v_add_f64 v[158:159], v[12:13], -v[44:45]
	v_add_f64 v[166:167], v[22:23], -v[50:51]
	;; [unrolled: 1-line block ×3, first 2 shown]
	s_waitcnt lgkmcnt(5)
	v_add_f64 v[172:173], v[24:25], v[80:81]
	v_add_f64 v[174:175], v[26:27], -v[82:83]
	s_waitcnt lgkmcnt(1)
	v_add_f64 v[178:179], v[88:89], v[96:97]
	v_add_f64 v[176:177], v[26:27], v[82:83]
	v_add_f64 v[180:181], v[24:25], -v[80:81]
	ds_load_b128 v[24:27], v208 offset:36000
	v_add_f64 v[182:183], v[90:91], v[98:99]
	v_add_f64 v[186:187], v[52:53], v[40:41]
	;; [unrolled: 1-line block ×3, first 2 shown]
	v_mad_i32_i24 v210, v139, 48, 0
	v_add_f64 v[36:37], v[104:105], v[36:37]
	v_add_f64 v[38:39], v[106:107], v[38:39]
	;; [unrolled: 1-line block ×6, first 2 shown]
	ds_load_b128 v[48:51], v208 offset:37440
	v_add_f64 v[8:9], v[116:117], v[80:81]
	v_fma_f64 v[104:105], v[118:119], -0.5, v[16:17]
	v_fma_f64 v[110:111], v[122:123], -0.5, v[18:19]
	v_add_f64 v[10:11], v[120:121], v[82:83]
	v_add_f64 v[106:107], v[60:61], v[84:85]
	v_add_f64 v[108:109], v[62:63], -v[86:87]
	v_add_f64 v[112:113], v[62:63], v[86:87]
	v_add_f64 v[114:115], v[60:61], -v[84:85]
	v_add_f64 v[20:21], v[124:125], v[84:85]
	ds_load_b128 v[60:63], v208 offset:38880
	ds_load_b128 v[80:83], v208 offset:40320
	s_waitcnt lgkmcnt(4)
	v_add_f64 v[84:85], v[92:93], v[100:101]
	v_add_f64 v[22:23], v[126:127], v[86:87]
	s_waitcnt lgkmcnt(3)
	v_add_f64 v[18:19], v[150:151], v[26:27]
	v_add_f64 v[86:87], v[94:95], v[102:103]
	v_add_f64 v[116:117], v[72:73], v[24:25]
	v_add_f64 v[120:121], v[74:75], v[26:27]
	v_fma_f64 v[124:125], v[152:153], -0.5, v[4:5]
	v_fma_f64 v[126:127], v[156:157], -0.5, v[6:7]
	s_waitcnt lgkmcnt(2)
	v_add_f64 v[150:151], v[76:77], v[48:49]
	v_add_f64 v[152:153], v[78:79], -v[50:51]
	v_add_f64 v[78:79], v[78:79], v[50:51]
	v_add_f64 v[16:17], v[146:147], v[24:25]
	v_add_f64 v[122:123], v[72:73], -v[24:25]
	v_add_f64 v[4:5], v[162:163], v[48:49]
	v_add_f64 v[6:7], v[164:165], v[50:51]
	;; [unrolled: 1-line block ×3, first 2 shown]
	v_add_f64 v[118:119], v[74:75], -v[26:27]
	v_add_f64 v[76:77], v[76:77], -v[48:49]
	s_waitcnt lgkmcnt(1)
	v_add_f64 v[24:25], v[178:179], v[60:61]
	v_add_f64 v[162:163], v[96:97], v[60:61]
	v_add_f64 v[164:165], v[98:99], v[62:63]
	s_waitcnt lgkmcnt(0)
	v_add_f64 v[178:179], v[100:101], v[80:81]
	v_add_f64 v[184:185], v[102:103], v[82:83]
	;; [unrolled: 1-line block ×4, first 2 shown]
	v_add_f64 v[98:99], v[98:99], -v[62:63]
	v_add_f64 v[96:97], v[96:97], -v[60:61]
	;; [unrolled: 1-line block ×3, first 2 shown]
	v_fma_f64 v[48:49], v[144:145], s[4:5], v[104:105]
	v_fma_f64 v[72:73], v[144:145], s[10:11], v[104:105]
	;; [unrolled: 1-line block ×4, first 2 shown]
	v_fma_f64 v[104:105], v[160:161], -0.5, v[0:1]
	v_fma_f64 v[110:111], v[168:169], -0.5, v[2:3]
	;; [unrolled: 1-line block ×3, first 2 shown]
	s_barrier
	buffer_gl0_inv
	v_add_f64 v[0:1], v[84:85], v[80:81]
	v_fma_f64 v[84:85], v[176:177], -0.5, v[34:35]
	v_mad_i32_i24 v209, v136, 48, 0
	v_add_f64 v[2:3], v[86:87], v[82:83]
	v_fma_f64 v[86:87], v[106:107], -0.5, v[56:57]
	v_fma_f64 v[106:107], v[112:113], -0.5, v[58:59]
	v_add_f64 v[82:83], v[102:103], -v[82:83]
	v_fma_f64 v[80:81], v[116:117], -0.5, v[64:65]
	v_fma_f64 v[102:103], v[120:121], -0.5, v[66:67]
	v_fma_f64 v[60:61], v[154:155], s[10:11], v[124:125]
	v_fma_f64 v[62:63], v[158:159], s[4:5], v[126:127]
	v_fma_f64 v[68:69], v[150:151], -0.5, v[68:69]
	v_fma_f64 v[70:71], v[78:79], -0.5, v[70:71]
	v_fma_f64 v[32:33], v[154:155], s[4:5], v[124:125]
	v_fma_f64 v[34:35], v[158:159], s[10:11], v[126:127]
	v_add_f64 v[112:113], v[54:55], -v[42:43]
	v_add_f64 v[116:117], v[52:53], -v[40:41]
	v_fma_f64 v[120:121], v[188:189], -0.5, v[30:31]
	v_add_f64 v[56:57], v[146:147], v[40:41]
	v_fma_f64 v[78:79], v[162:163], -0.5, v[88:89]
	v_fma_f64 v[88:89], v[164:165], -0.5, v[90:91]
	;; [unrolled: 1-line block ×5, first 2 shown]
	v_mad_u32_u24 v40, v128, 48, 0
	v_add_f64 v[58:59], v[156:157], v[42:43]
	v_and_b32_e32 v186, 0xff, v128
	ds_store_b128 v40, v[36:39]
	ds_store_b128 v40, v[48:51] offset:16
	ds_store_b128 v40, v[72:75] offset:32
	v_mad_i32_i24 v72, v132, 48, 0
	v_and_b32_e32 v187, 0xff, v132
	v_fma_f64 v[28:29], v[166:167], s[4:5], v[104:105]
	v_fma_f64 v[30:31], v[170:171], s[10:11], v[110:111]
	;; [unrolled: 1-line block ×6, first 2 shown]
	ds_store_b128 v72, v[44:47]
	ds_store_b128 v72, v[32:35] offset:16
	v_fma_f64 v[42:43], v[180:181], s[10:11], v[84:85]
	v_fma_f64 v[50:51], v[180:181], s[4:5], v[84:85]
	;; [unrolled: 1-line block ×6, first 2 shown]
	ds_store_b128 v72, v[60:63] offset:32
	v_fma_f64 v[60:61], v[152:153], s[4:5], v[68:69]
	v_fma_f64 v[62:63], v[76:77], s[10:11], v[70:71]
	;; [unrolled: 1-line block ×16, first 2 shown]
	v_mad_i32_i24 v102, v143, 48, 0
	v_fma_f64 v[88:89], v[112:113], s[4:5], v[94:95]
	v_fma_f64 v[90:91], v[116:117], s[10:11], v[120:121]
	;; [unrolled: 1-line block ×4, first 2 shown]
	ds_store_b128 v102, v[12:15]
	ds_store_b128 v102, v[28:31] offset:16
	ds_store_b128 v102, v[36:39] offset:32
	v_mul_lo_u16 v12, 0xab, v186
	v_mad_i32_i24 v96, v142, 48, 0
	ds_store_b128 v96, v[8:11]
	ds_store_b128 v96, v[40:43] offset:16
	ds_store_b128 v96, v[48:51] offset:32
	v_lshrrev_b16 v193, 9, v12
	v_mad_i32_i24 v13, v141, 48, 0
	v_mad_i32_i24 v8, v140, 48, 0
	ds_store_b128 v13, v[20:23]
	ds_store_b128 v13, v[52:55] offset:16
	ds_store_b128 v13, v[64:67] offset:32
	v_mul_lo_u16 v9, v193, 3
	ds_store_b128 v8, v[16:19]
	ds_store_b128 v8, v[32:35] offset:16
	ds_store_b128 v8, v[44:47] offset:32
	v_mad_i32_i24 v8, v138, 48, 0
	ds_store_b128 v210, v[4:7]
	ds_store_b128 v210, v[60:63] offset:16
	ds_store_b128 v210, v[68:71] offset:32
	v_mad_i32_i24 v4, v137, 48, 0
	v_sub_nc_u16 v9, v128, v9
	ds_store_b128 v8, v[24:27]
	ds_store_b128 v8, v[72:75] offset:16
	ds_store_b128 v8, v[76:79] offset:32
	v_and_b32_e32 v192, 0xff, v9
	ds_store_b128 v4, v[0:3]
	ds_store_b128 v4, v[80:83] offset:16
	ds_store_b128 v4, v[84:87] offset:32
	ds_store_b128 v209, v[56:59]
	ds_store_b128 v209, v[88:91] offset:16
	v_mul_lo_u16 v1, 0xab, v187
	v_and_b32_e32 v188, 0xffff, v143
	v_lshlrev_b32_e32 v133, 5, v139
	v_mul_u32_u24_e32 v5, 9, v192
	v_lshlrev_b32_e32 v212, 5, v136
	ds_store_b128 v209, v[92:95] offset:32
	s_waitcnt lgkmcnt(0)
	s_barrier
	v_lshlrev_b32_e32 v0, 4, v5
	buffer_gl0_inv
	s_clause 0x2
	global_load_b128 v[48:51], v0, s[8:9]
	global_load_b128 v[52:55], v0, s[8:9] offset:16
	global_load_b128 v[56:59], v0, s[8:9] offset:32
	v_lshrrev_b16 v191, 9, v1
	s_clause 0x3
	global_load_b128 v[60:63], v0, s[8:9] offset:48
	global_load_b128 v[64:67], v0, s[8:9] offset:64
	;; [unrolled: 1-line block ×4, first 2 shown]
	v_mul_lo_u16 v1, v191, 3
	s_clause 0x1
	global_load_b128 v[104:107], v0, s[8:9] offset:112
	global_load_b128 v[154:157], v0, s[8:9] offset:128
	v_lshl_add_u32 v211, v142, 4, 0
	v_sub_nc_u32_e32 v214, v210, v133
	v_sub_nc_u16 v1, v132, v1
	v_sub_nc_u32_e32 v213, v209, v212
	s_mov_b32 s14, 0x134454ff
	s_mov_b32 s15, 0xbfee6f0e
	;; [unrolled: 1-line block ×3, first 2 shown]
	v_and_b32_e32 v194, 0xff, v1
	v_mul_u32_u24_e32 v1, 0xaaab, v188
	s_mov_b32 s0, s14
	s_mov_b32 s16, 0x4755a5e
	;; [unrolled: 1-line block ×3, first 2 shown]
	v_mul_u32_u24_e32 v2, 9, v194
	v_lshrrev_b32_e32 v189, 17, v1
	s_mov_b32 s13, 0x3fe2cf23
	s_mov_b32 s12, s16
	v_and_b32_e32 v193, 0xffff, v193
	v_lshlrev_b32_e32 v8, 4, v2
	v_mul_lo_u16 v0, v189, 3
	s_mov_b32 s18, 0x372fe950
	s_mov_b32 s19, 0x3fd3c6ef
	v_mul_u32_u24_e32 v207, 0x1e0, v193
	s_clause 0x3
	global_load_b128 v[158:161], v8, s[8:9] offset:16
	global_load_b128 v[162:165], v8, s[8:9] offset:48
	;; [unrolled: 1-line block ×4, first 2 shown]
	v_sub_nc_u16 v0, v143, v0
	s_mov_b32 s20, 0x9b97f4a8
	s_mov_b32 s21, 0x3fe9e377
	;; [unrolled: 1-line block ×4, first 2 shown]
	v_and_b32_e32 v190, 0xffff, v0
	s_mov_b32 s22, s18
	s_mov_b32 s24, s20
	s_delay_alu instid0(VALU_DEP_1) | instskip(NEXT) | instid1(VALU_DEP_1)
	v_mul_u32_u24_e32 v0, 9, v190
	v_lshlrev_b32_e32 v36, 4, v0
	s_clause 0xd
	global_load_b128 v[92:95], v36, s[8:9] offset:16
	global_load_b128 v[96:99], v36, s[8:9] offset:48
	;; [unrolled: 1-line block ×3, first 2 shown]
	global_load_b128 v[32:35], v8, s[8:9]
	global_load_b128 v[4:7], v8, s[8:9] offset:32
	global_load_b128 v[0:3], v8, s[8:9] offset:64
	;; [unrolled: 1-line block ×5, first 2 shown]
	global_load_b128 v[20:23], v36, s[8:9]
	global_load_b128 v[16:19], v36, s[8:9] offset:32
	global_load_b128 v[12:15], v36, s[8:9] offset:64
	;; [unrolled: 1-line block ×4, first 2 shown]
	ds_load_b128 v[76:79], v211
	ds_load_b128 v[80:83], v214
	;; [unrolled: 1-line block ×3, first 2 shown]
	ds_load_b128 v[122:125], v208 offset:17280
	ds_load_b128 v[44:47], v208 offset:31680
	;; [unrolled: 1-line block ×12, first 2 shown]
	s_waitcnt vmcnt(26) lgkmcnt(14)
	v_mul_f64 v[108:109], v[78:79], v[50:51]
	s_waitcnt vmcnt(25) lgkmcnt(13)
	v_mul_f64 v[114:115], v[82:83], v[54:55]
	;; [unrolled: 2-line block ×3, first 2 shown]
	v_mul_f64 v[58:59], v[110:111], v[58:59]
	v_mul_f64 v[50:51], v[76:77], v[50:51]
	;; [unrolled: 1-line block ×3, first 2 shown]
	s_waitcnt vmcnt(23) lgkmcnt(11)
	v_mul_f64 v[126:127], v[124:125], v[62:63]
	v_mul_f64 v[62:63], v[122:123], v[62:63]
	s_waitcnt vmcnt(22) lgkmcnt(9)
	v_mul_f64 v[144:145], v[152:153], v[66:67]
	v_mul_f64 v[66:67], v[150:151], v[66:67]
	s_waitcnt vmcnt(21) lgkmcnt(8)
	v_mul_f64 v[227:228], v[168:169], v[70:71]
	s_waitcnt vmcnt(20) lgkmcnt(7)
	;; [unrolled: 2-line block ×3, first 2 shown]
	v_mul_f64 v[231:232], v[180:181], v[106:107]
	v_mul_f64 v[233:234], v[178:179], v[106:107]
	s_waitcnt vmcnt(18) lgkmcnt(3)
	v_mul_f64 v[235:236], v[197:198], v[156:157]
	v_mul_f64 v[70:71], v[166:167], v[70:71]
	;; [unrolled: 1-line block ×3, first 2 shown]
	s_waitcnt vmcnt(16)
	v_mul_f64 v[237:238], v[176:177], v[164:165]
	s_waitcnt vmcnt(15) lgkmcnt(1)
	v_mul_f64 v[239:240], v[205:206], v[90:91]
	v_mul_f64 v[164:165], v[174:175], v[164:165]
	;; [unrolled: 1-line block ×3, first 2 shown]
	v_fma_f64 v[120:121], v[76:77], v[48:49], v[108:109]
	v_fma_f64 v[106:107], v[80:81], v[52:53], v[114:115]
	;; [unrolled: 1-line block ×3, first 2 shown]
	v_fma_f64 v[110:111], v[112:113], v[56:57], -v[58:59]
	v_mul_f64 v[112:113], v[195:196], v[156:157]
	v_mul_f64 v[156:157], v[201:202], v[160:161]
	;; [unrolled: 1-line block ×3, first 2 shown]
	v_fma_f64 v[118:119], v[78:79], v[48:49], -v[50:51]
	ds_load_b128 v[48:51], v208 offset:33120
	v_fma_f64 v[108:109], v[82:83], v[52:53], -v[54:55]
	ds_load_b128 v[219:222], v208 offset:36000
	ds_load_b128 v[52:55], v208 offset:40320
	;; [unrolled: 1-line block ×4, first 2 shown]
	v_fma_f64 v[148:149], v[122:123], v[60:61], v[126:127]
	v_fma_f64 v[146:147], v[124:125], v[60:61], -v[62:63]
	v_fma_f64 v[122:123], v[150:151], v[64:65], v[144:145]
	v_fma_f64 v[124:125], v[152:153], v[64:65], -v[66:67]
	v_fma_f64 v[152:153], v[166:167], v[68:69], v[227:228]
	v_fma_f64 v[144:145], v[170:171], v[72:73], v[229:230]
	s_waitcnt vmcnt(12)
	v_mul_f64 v[229:230], v[184:185], v[98:99]
	v_fma_f64 v[116:117], v[178:179], v[104:105], v[231:232]
	v_mul_f64 v[178:179], v[182:183], v[98:99]
	s_waitcnt vmcnt(11) lgkmcnt(5)
	v_mul_f64 v[231:232], v[217:218], v[102:103]
	v_fma_f64 v[90:91], v[195:196], v[154:155], v[235:236]
	v_mul_f64 v[195:196], v[215:216], v[102:103]
	v_fma_f64 v[150:151], v[168:169], v[68:69], -v[70:71]
	v_fma_f64 v[126:127], v[172:173], v[72:73], -v[74:75]
	ds_load_b128 v[56:59], v208 offset:14400
	ds_load_b128 v[80:83], v208 offset:5760
	;; [unrolled: 1-line block ×4, first 2 shown]
	s_waitcnt lgkmcnt(7)
	v_mul_f64 v[243:244], v[221:222], v[86:87]
	v_mul_f64 v[166:167], v[219:220], v[86:87]
	s_waitcnt lgkmcnt(5)
	v_mul_f64 v[227:228], v[225:226], v[94:95]
	v_mul_f64 v[245:246], v[223:224], v[94:95]
	v_fma_f64 v[94:95], v[180:181], v[104:105], -v[233:234]
	ds_load_b128 v[72:75], v208 offset:15840
	ds_load_b128 v[64:67], v208 offset:24480
	;; [unrolled: 1-line block ×3, first 2 shown]
	s_waitcnt vmcnt(5)
	v_mul_f64 v[168:169], v[54:55], v[26:27]
	s_waitcnt vmcnt(1)
	v_mul_f64 v[180:181], v[50:51], v[10:11]
	v_fma_f64 v[86:87], v[197:198], v[154:155], -v[112:113]
	v_fma_f64 v[98:99], v[199:200], v[158:159], v[156:157]
	v_fma_f64 v[112:113], v[201:202], v[158:159], -v[160:161]
	v_fma_f64 v[158:159], v[203:204], v[88:89], v[239:240]
	s_waitcnt lgkmcnt(7)
	v_mul_f64 v[197:198], v[78:79], v[42:43]
	v_mul_f64 v[203:204], v[76:77], v[42:43]
	v_fma_f64 v[154:155], v[174:175], v[162:163], v[237:238]
	v_fma_f64 v[156:157], v[176:177], v[162:163], -v[164:165]
	s_waitcnt lgkmcnt(5)
	v_mul_f64 v[199:200], v[82:83], v[34:35]
	v_mul_f64 v[201:202], v[80:81], v[34:35]
	;; [unrolled: 1-line block ×3, first 2 shown]
	v_fma_f64 v[88:89], v[205:206], v[88:89], -v[241:242]
	v_mul_f64 v[162:163], v[56:57], v[6:7]
	s_waitcnt lgkmcnt(4)
	v_mul_f64 v[164:165], v[70:71], v[2:3]
	v_mul_f64 v[42:43], v[68:69], v[2:3]
	s_waitcnt lgkmcnt(3)
	v_mul_f64 v[170:171], v[62:63], v[22:23]
	;; [unrolled: 3-line block ×3, first 2 shown]
	v_fma_f64 v[22:23], v[182:183], v[96:97], v[229:230]
	s_waitcnt lgkmcnt(1)
	v_mul_f64 v[176:177], v[66:67], v[14:15]
	v_fma_f64 v[34:35], v[219:220], v[84:85], v[243:244]
	v_fma_f64 v[6:7], v[221:222], v[84:85], -v[166:167]
	v_mul_f64 v[84:85], v[46:47], v[30:31]
	v_mul_f64 v[166:167], v[44:45], v[30:31]
	v_fma_f64 v[2:3], v[223:224], v[92:93], v[227:228]
	v_fma_f64 v[30:31], v[225:226], v[92:93], -v[245:246]
	v_mul_f64 v[92:93], v[52:53], v[26:27]
	v_fma_f64 v[26:27], v[184:185], v[96:97], -v[178:179]
	v_mul_f64 v[96:97], v[72:73], v[18:19]
	v_mul_f64 v[178:179], v[64:65], v[14:15]
	v_fma_f64 v[18:19], v[215:216], v[100:101], v[231:232]
	v_fma_f64 v[14:15], v[217:218], v[100:101], -v[195:196]
	v_mul_f64 v[100:101], v[48:49], v[10:11]
	v_lshl_add_u32 v216, v132, 4, 0
	v_lshl_add_u32 v215, v143, 4, 0
	v_fma_f64 v[10:11], v[76:77], v[40:41], v[197:198]
	ds_load_b128 v[195:198], v208
	s_waitcnt vmcnt(0) lgkmcnt(1)
	v_mul_f64 v[182:183], v[104:105], v[38:39]
	v_mul_f64 v[184:185], v[102:103], v[38:39]
	v_fma_f64 v[38:39], v[78:79], v[40:41], -v[203:204]
	v_fma_f64 v[78:79], v[80:81], v[32:33], v[199:200]
	v_fma_f64 v[76:77], v[82:83], v[32:33], -v[201:202]
	v_fma_f64 v[160:161], v[56:57], v[4:5], v[160:161]
	v_fma_f64 v[56:57], v[58:59], v[4:5], -v[162:163]
	v_fma_f64 v[58:59], v[68:69], v[0:1], v[164:165]
	v_fma_f64 v[68:69], v[70:71], v[0:1], -v[42:43]
	v_fma_f64 v[4:5], v[52:53], v[24:25], v[168:169]
	v_fma_f64 v[52:53], v[60:61], v[20:21], v[170:171]
	v_fma_f64 v[60:61], v[72:73], v[16:17], v[174:175]
	;; [unrolled: 1-line block ×4, first 2 shown]
	v_add_f64 v[0:1], v[148:149], v[152:153]
	v_add_f64 v[32:33], v[106:107], -v[148:149]
	v_add_f64 v[40:41], v[154:155], v[158:159]
	v_add_f64 v[48:49], v[108:109], -v[146:147]
	v_add_f64 v[162:163], v[90:91], -v[144:145]
	;; [unrolled: 1-line block ×3, first 2 shown]
	v_add_f64 v[42:43], v[98:99], v[34:35]
	v_add_f64 v[170:171], v[86:87], -v[126:127]
	v_fma_f64 v[70:71], v[44:45], v[28:29], v[84:85]
	v_fma_f64 v[84:85], v[46:47], v[28:29], -v[166:167]
	v_add_f64 v[44:45], v[156:157], v[88:89]
	v_add_f64 v[46:47], v[112:113], v[6:7]
	v_fma_f64 v[24:25], v[54:55], v[24:25], -v[92:93]
	v_fma_f64 v[54:55], v[62:63], v[20:21], -v[172:173]
	;; [unrolled: 1-line block ×4, first 2 shown]
	v_add_f64 v[16:17], v[106:107], v[116:117]
	v_add_f64 v[74:75], v[94:95], -v[150:151]
	v_fma_f64 v[50:51], v[50:51], v[8:9], -v[100:101]
	v_add_f64 v[92:93], v[22:23], v[18:19]
	v_add_f64 v[100:101], v[26:27], v[14:15]
	v_add_f64 v[172:173], v[148:149], -v[106:107]
	v_add_f64 v[96:97], v[2:3], v[10:11]
	v_add_f64 v[174:175], v[152:153], -v[116:117]
	v_fma_f64 v[8:9], v[102:103], v[36:37], v[182:183]
	v_fma_f64 v[12:13], v[104:105], v[36:37], -v[184:185]
	v_add_f64 v[36:37], v[116:117], -v[152:153]
	v_add_f64 v[102:103], v[30:31], v[38:39]
	v_add_f64 v[104:105], v[114:115], -v[122:123]
	v_add_f64 v[176:177], v[146:147], -v[108:109]
	;; [unrolled: 1-line block ×7, first 2 shown]
	ds_load_b128 v[80:83], v216
	ds_load_b128 v[199:202], v215
	v_add_f64 v[20:21], v[146:147], v[150:151]
	s_waitcnt lgkmcnt(2)
	v_add_f64 v[164:165], v[195:196], v[106:107]
	v_add_f64 v[205:206], v[98:99], -v[154:155]
	v_add_f64 v[217:218], v[34:35], -v[158:159]
	v_fma_f64 v[231:232], v[0:1], -0.5, v[195:196]
	v_add_f64 v[166:167], v[197:198], v[108:109]
	v_add_f64 v[225:226], v[112:113], -v[156:157]
	v_add_f64 v[227:228], v[6:7], -v[88:89]
	v_add_f64 v[235:236], v[160:161], -v[58:59]
	v_add_f64 v[28:29], v[108:109], v[94:95]
	v_add_f64 v[237:238], v[4:5], -v[70:71]
	v_add_f64 v[108:109], v[108:109], -v[94:95]
	;; [unrolled: 1-line block ×3, first 2 shown]
	s_waitcnt lgkmcnt(0)
	s_barrier
	buffer_gl0_inv
	v_add_f64 v[219:220], v[80:81], v[98:99]
	v_add_f64 v[221:222], v[82:83], v[112:113]
	;; [unrolled: 1-line block ×3, first 2 shown]
	v_fma_f64 v[195:196], v[16:17], -0.5, v[195:196]
	v_fma_f64 v[239:240], v[40:41], -0.5, v[80:81]
	;; [unrolled: 1-line block ×5, first 2 shown]
	v_add_f64 v[40:41], v[56:57], -v[68:69]
	v_add_f64 v[44:45], v[24:25], -v[84:85]
	v_fma_f64 v[46:47], v[92:93], -0.5, v[199:200]
	v_fma_f64 v[92:93], v[96:97], -0.5, v[199:200]
	;; [unrolled: 1-line block ×4, first 2 shown]
	v_add_f64 v[100:101], v[154:155], -v[98:99]
	v_add_f64 v[102:103], v[158:159], -v[34:35]
	v_add_f64 v[0:1], v[32:33], v[36:37]
	v_add_f64 v[199:200], v[156:157], -v[112:113]
	v_add_f64 v[16:17], v[48:49], v[74:75]
	;; [unrolled: 2-line block ×8, first 2 shown]
	v_add_f64 v[180:181], v[10:11], -v[18:19]
	v_add_f64 v[182:183], v[30:31], -v[26:27]
	;; [unrolled: 1-line block ×3, first 2 shown]
	v_fma_f64 v[233:234], v[20:21], -0.5, v[197:198]
	v_add_f64 v[20:21], v[205:206], v[217:218]
	v_add_f64 v[164:165], v[164:165], v[148:149]
	;; [unrolled: 1-line block ×3, first 2 shown]
	v_add_f64 v[148:149], v[148:149], -v[152:153]
	v_add_f64 v[146:147], v[146:147], -v[150:151]
	;; [unrolled: 1-line block ×4, first 2 shown]
	v_add_f64 v[229:230], v[201:202], v[30:31]
	v_fma_f64 v[197:198], v[28:29], -0.5, v[197:198]
	v_add_f64 v[28:29], v[225:226], v[227:228]
	v_add_f64 v[112:113], v[112:113], -v[6:7]
	v_add_f64 v[98:99], v[98:99], -v[34:35]
	v_add_f64 v[205:206], v[40:41], v[44:45]
	v_add_f64 v[201:202], v[235:236], v[237:238]
	;; [unrolled: 1-line block ×3, first 2 shown]
	v_add_f64 v[100:101], v[62:63], -v[66:67]
	v_add_f64 v[102:103], v[12:13], -v[50:51]
	v_add_f64 v[40:41], v[199:200], v[48:49]
	v_add_f64 v[199:200], v[64:65], -v[60:61]
	v_add_f64 v[104:105], v[104:105], v[168:169]
	v_add_f64 v[168:169], v[22:23], -v[2:3]
	v_add_f64 v[2:3], v[2:3], -v[10:11]
	v_add_f64 v[170:171], v[170:171], v[172:173]
	v_add_f64 v[172:173], v[18:19], -v[10:11]
	v_add_f64 v[48:49], v[176:177], v[180:181]
	;; [unrolled: 2-line block ×3, first 2 shown]
	v_add_f64 v[182:183], v[14:15], -v[38:39]
	v_fma_f64 v[225:226], v[106:107], s[14:15], v[233:234]
	v_add_f64 v[152:153], v[164:165], v[152:153]
	v_add_f64 v[164:165], v[124:125], v[126:127]
	v_add_f64 v[150:151], v[166:167], v[150:151]
	v_add_f64 v[166:167], v[110:111], v[86:87]
	v_add_f64 v[30:31], v[30:31], -v[38:39]
	v_add_f64 v[184:185], v[203:204], v[217:218]
	v_add_f64 v[203:204], v[219:220], v[154:155]
	;; [unrolled: 1-line block ×3, first 2 shown]
	v_add_f64 v[154:155], v[154:155], -v[158:159]
	v_add_f64 v[156:157], v[156:157], -v[88:89]
	v_add_f64 v[219:220], v[223:224], v[22:23]
	v_add_f64 v[221:222], v[229:230], v[26:27]
	v_add_f64 v[22:23], v[22:23], -v[18:19]
	v_add_f64 v[26:27], v[26:27], -v[14:15]
	v_fma_f64 v[227:228], v[112:113], s[0:1], v[239:240]
	v_add_f64 v[100:101], v[100:101], v[102:103]
	v_add_f64 v[102:103], v[72:73], -v[8:9]
	v_add_f64 v[168:169], v[168:169], v[172:173]
	v_add_f64 v[172:173], v[66:67], -v[62:63]
	;; [unrolled: 2-line block ×3, first 2 shown]
	v_add_f64 v[116:117], v[152:153], v[116:117]
	v_fma_f64 v[164:165], v[164:165], -0.5, v[118:119]
	v_fma_f64 v[152:153], v[146:147], s[0:1], v[195:196]
	v_fma_f64 v[166:167], v[166:167], -0.5, v[118:119]
	v_add_f64 v[118:119], v[118:119], v[110:111]
	v_add_f64 v[110:111], v[110:111], -v[86:87]
	v_add_f64 v[158:159], v[203:204], v[158:159]
	v_add_f64 v[203:204], v[68:69], v[84:85]
	;; [unrolled: 1-line block ×8, first 2 shown]
	v_fma_f64 v[195:196], v[146:147], s[14:15], v[195:196]
	v_add_f64 v[94:95], v[150:151], v[94:95]
	v_fma_f64 v[150:151], v[106:107], s[0:1], v[233:234]
	v_add_f64 v[102:103], v[199:200], v[102:103]
	v_add_f64 v[199:200], v[122:123], v[144:145]
	;; [unrolled: 1-line block ×4, first 2 shown]
	v_fma_f64 v[152:153], v[108:109], s[16:17], v[152:153]
	v_add_f64 v[118:119], v[118:119], v[124:125]
	v_add_f64 v[124:125], v[124:125], -v[126:127]
	v_add_f64 v[158:159], v[158:159], v[34:35]
	v_fma_f64 v[203:204], v[203:204], -0.5, v[76:77]
	v_add_f64 v[88:89], v[88:89], v[6:7]
	v_fma_f64 v[217:218], v[217:218], -0.5, v[76:77]
	;; [unrolled: 2-line block ×3, first 2 shown]
	v_add_f64 v[56:57], v[56:57], -v[24:25]
	v_fma_f64 v[14:15], v[14:15], -0.5, v[54:55]
	v_add_f64 v[54:55], v[54:55], v[62:63]
	v_add_f64 v[62:63], v[62:63], -v[12:13]
	v_fma_f64 v[150:151], v[148:149], s[12:13], v[150:151]
	v_lshlrev_b32_e32 v6, 4, v192
	v_fma_f64 v[192:193], v[98:99], s[14:15], v[241:242]
	v_add_f64 v[38:39], v[221:222], v[38:39]
	v_fma_f64 v[199:200], v[199:200], -0.5, v[120:121]
	s_delay_alu instid0(VALU_DEP_4)
	v_add3_u32 v6, 0, v207, v6
	v_fma_f64 v[182:183], v[182:183], -0.5, v[120:121]
	v_add_f64 v[120:121], v[120:121], v[114:115]
	v_add_f64 v[114:115], v[114:115], -v[90:91]
	v_add_f64 v[118:119], v[118:119], v[126:127]
	v_add_f64 v[126:127], v[160:161], v[4:5]
	v_add_f64 v[76:77], v[76:77], v[68:69]
	v_add_f64 v[68:69], v[68:69], -v[84:85]
	v_add_f64 v[54:55], v[54:55], v[66:67]
	v_add_f64 v[66:67], v[66:67], -v[50:51]
	v_fma_f64 v[150:151], v[16:17], s[18:19], v[150:151]
	v_add_f64 v[120:121], v[120:121], v[122:123]
	v_add_f64 v[122:123], v[122:123], -v[144:145]
	v_add_f64 v[86:87], v[118:119], v[86:87]
	v_fma_f64 v[126:127], v[126:127], -0.5, v[78:79]
	v_add_f64 v[76:77], v[76:77], v[84:85]
	v_add_f64 v[84:85], v[60:61], v[8:9]
	;; [unrolled: 1-line block ×4, first 2 shown]
	v_fma_f64 v[118:119], v[68:69], s[0:1], v[126:127]
	v_fma_f64 v[126:127], v[68:69], s[14:15], v[126:127]
	v_add_f64 v[24:25], v[76:77], v[24:25]
	v_fma_f64 v[84:85], v[84:85], -0.5, v[52:53]
	v_add_f64 v[76:77], v[18:19], v[10:11]
	v_add_f64 v[90:91], v[120:121], v[90:91]
	v_fma_f64 v[144:145], v[144:145], -0.5, v[78:79]
	v_add_f64 v[78:79], v[78:79], v[160:161]
	v_add_f64 v[160:161], v[160:161], -v[4:5]
	v_fma_f64 v[120:121], v[154:155], s[14:15], v[82:83]
	v_fma_f64 v[82:83], v[154:155], s[0:1], v[82:83]
	v_fma_f64 v[118:119], v[56:57], s[16:17], v[118:119]
	v_add_f64 v[78:79], v[78:79], v[58:59]
	v_add_f64 v[58:59], v[58:59], -v[70:71]
	v_fma_f64 v[120:121], v[98:99], s[12:13], v[120:121]
	v_fma_f64 v[82:83], v[98:99], s[16:17], v[82:83]
	s_delay_alu instid0(VALU_DEP_4) | instskip(SKIP_1) | instid1(VALU_DEP_3)
	v_add_f64 v[78:79], v[78:79], v[70:71]
	v_add_f64 v[70:71], v[64:65], v[72:73]
	v_fma_f64 v[82:83], v[40:41], s[18:19], v[82:83]
	s_delay_alu instid0(VALU_DEP_3) | instskip(NEXT) | instid1(VALU_DEP_3)
	v_add_f64 v[4:5], v[78:79], v[4:5]
	v_fma_f64 v[70:71], v[70:71], -0.5, v[52:53]
	v_add_f64 v[52:53], v[52:53], v[60:61]
	v_add_f64 v[60:61], v[60:61], -v[8:9]
	s_delay_alu instid0(VALU_DEP_2) | instskip(SKIP_1) | instid1(VALU_DEP_3)
	v_add_f64 v[52:53], v[52:53], v[64:65]
	v_add_f64 v[64:65], v[64:65], -v[72:73]
	v_fma_f64 v[229:230], v[60:61], s[0:1], v[219:220]
	v_fma_f64 v[219:220], v[60:61], s[14:15], v[219:220]
	s_delay_alu instid0(VALU_DEP_4)
	v_add_f64 v[223:224], v[52:53], v[72:73]
	v_fma_f64 v[52:53], v[122:123], s[14:15], v[166:167]
	v_fma_f64 v[72:73], v[122:123], s[0:1], v[166:167]
	v_add_f64 v[166:167], v[54:55], v[50:51]
	v_fma_f64 v[50:51], v[114:115], s[0:1], v[164:165]
	v_fma_f64 v[54:55], v[114:115], s[14:15], v[164:165]
	;; [unrolled: 1-line block ×6, first 2 shown]
	v_add_f64 v[78:79], v[223:224], v[8:9]
	v_fma_f64 v[52:53], v[114:115], s[12:13], v[52:53]
	v_fma_f64 v[72:73], v[114:115], s[16:17], v[72:73]
	;; [unrolled: 1-line block ×10, first 2 shown]
	v_add_f64 v[9:10], v[88:89], v[24:25]
	v_add_f64 v[7:8], v[158:159], v[4:5]
	v_fma_f64 v[52:53], v[178:179], s[18:19], v[52:53]
	v_fma_f64 v[72:73], v[178:179], s[18:19], v[72:73]
	;; [unrolled: 1-line block ×40, first 2 shown]
	v_mul_f64 v[122:123], v[50:51], s[16:17]
	v_mul_f64 v[50:51], v[50:51], s[20:21]
	;; [unrolled: 1-line block ×4, first 2 shown]
	v_fma_f64 v[74:75], v[74:75], s[18:19], v[124:125]
	v_mul_f64 v[124:125], v[54:55], s[16:17]
	v_mul_f64 v[54:55], v[54:55], s[24:25]
	v_fma_f64 v[92:93], v[30:31], s[12:13], v[92:93]
	v_fma_f64 v[225:226], v[156:157], s[16:17], v[225:226]
	;; [unrolled: 1-line block ×8, first 2 shown]
	v_add_f64 v[16:17], v[94:95], v[86:87]
	v_add_f64 v[2:3], v[94:95], -v[86:87]
	v_fma_f64 v[108:109], v[36:37], s[18:19], v[108:109]
	v_fma_f64 v[86:87], v[104:105], s[18:19], v[118:119]
	;; [unrolled: 1-line block ×13, first 2 shown]
	v_mul_f64 v[192:193], v[52:53], s[14:15]
	v_mul_f64 v[52:53], v[52:53], s[18:19]
	v_fma_f64 v[98:99], v[68:69], s[16:17], v[98:99]
	v_fma_f64 v[68:69], v[68:69], s[12:13], v[144:145]
	;; [unrolled: 1-line block ×30, first 2 shown]
	v_add_f64 v[14:15], v[116:117], v[90:91]
	v_add_f64 v[0:1], v[116:117], -v[90:91]
	v_fma_f64 v[90:91], v[104:105], s[18:19], v[56:57]
	v_fma_f64 v[98:99], v[201:202], s[18:19], v[98:99]
	;; [unrolled: 1-line block ×6, first 2 shown]
	v_mul_f64 v[201:202], v[34:35], s[14:15]
	v_mul_f64 v[203:204], v[34:35], s[18:19]
	v_add_f64 v[32:33], v[150:151], v[50:51]
	v_fma_f64 v[144:145], v[168:169], s[18:19], v[144:145]
	v_mul_f64 v[182:183], v[160:161], s[14:15]
	v_mul_f64 v[160:161], v[160:161], s[22:23]
	v_fma_f64 v[116:117], v[102:103], s[18:19], v[64:65]
	v_fma_f64 v[102:103], v[102:103], s[18:19], v[62:63]
	v_mul_f64 v[118:119], v[66:67], s[16:17]
	v_mul_f64 v[124:125], v[66:67], s[20:21]
	;; [unrolled: 1-line block ×10, first 2 shown]
	v_add_f64 v[52:53], v[60:61], v[114:115]
	v_add_f64 v[56:57], v[60:61], -v[114:115]
	v_add_f64 v[60:61], v[106:107], v[72:73]
	v_add_f64 v[64:65], v[106:107], -v[72:73]
	;; [unrolled: 2-line block ×3, first 2 shown]
	v_fma_f64 v[42:43], v[184:185], s[18:19], v[84:85]
	v_mul_f64 v[74:75], v[94:95], s[16:17]
	v_mul_f64 v[84:85], v[94:95], s[24:25]
	v_add_f64 v[30:31], v[36:37], v[122:123]
	v_add_f64 v[34:35], v[36:37], -v[122:123]
	v_add_f64 v[36:37], v[150:151], -v[50:51]
	v_add_f64 v[50:51], v[58:59], v[164:165]
	v_add_f64 v[54:55], v[58:59], -v[164:165]
	v_add_f64 v[58:59], v[108:109], v[172:173]
	;; [unrolled: 2-line block ×4, first 2 shown]
	v_fma_f64 v[106:107], v[44:45], s[18:19], v[195:196]
	v_fma_f64 v[108:109], v[20:21], s[18:19], v[225:226]
	;; [unrolled: 1-line block ×29, first 2 shown]
	ds_store_b128 v6, v[14:17]
	ds_store_b128 v6, v[30:33] offset:48
	v_add_f64 v[13:14], v[88:89], -v[24:25]
	v_add_f64 v[15:16], v[76:77], v[78:79]
	v_add_f64 v[19:20], v[76:77], -v[78:79]
	v_add_f64 v[11:12], v[158:159], -v[4:5]
	v_mul_lo_u16 v31, 0x89, v186
	v_and_b32_e32 v4, 0xffff, v191
	ds_store_b128 v6, v[50:53] offset:96
	ds_store_b128 v6, v[58:61] offset:144
	v_add_f64 v[17:18], v[38:39], v[94:95]
	v_add_f64 v[21:22], v[38:39], -v[94:95]
	v_lshrrev_b16 v221, 12, v31
	ds_store_b128 v6, v[66:69] offset:192
	ds_store_b128 v6, v[0:3] offset:240
	v_mul_u32_u24_e32 v4, 0x1e0, v4
	v_lshlrev_b32_e32 v5, 4, v194
	ds_store_b128 v6, v[34:37] offset:288
	ds_store_b128 v6, v[54:57] offset:336
	v_mul_lo_u16 v2, v221, 30
	v_mul_u32_u24_e32 v1, 0x1e0, v189
	v_lshlrev_b32_e32 v3, 4, v190
	v_add_f64 v[27:28], v[108:109], -v[44:45]
	v_add_f64 v[29:30], v[110:111], -v[98:99]
	v_add_f64 v[38:39], v[106:107], v[112:113]
	v_add_f64 v[40:41], v[114:115], v[86:87]
	;; [unrolled: 1-line block ×3, first 2 shown]
	v_add_f64 v[42:43], v[106:107], -v[112:113]
	v_add_f64 v[44:45], v[114:115], -v[86:87]
	v_add_f64 v[46:47], v[80:81], v[118:119]
	v_add_f64 v[48:49], v[82:83], v[90:91]
	v_add_f64 v[74:75], v[80:81], -v[118:119]
	v_add_f64 v[76:77], v[82:83], -v[90:91]
	v_add_f64 v[78:79], v[120:121], v[124:125]
	v_add_f64 v[80:81], v[122:123], v[100:101]
	;; [unrolled: 1-line block ×3, first 2 shown]
	v_add_f64 v[82:83], v[120:121], -v[124:125]
	v_add_f64 v[84:85], v[122:123], -v[100:101]
	;; [unrolled: 1-line block ×3, first 2 shown]
	v_add_f64 v[106:107], v[164:165], v[168:169]
	v_add_f64 v[108:109], v[166:167], v[170:171]
	v_add_f64 v[112:113], v[156:157], -v[162:163]
	v_add_f64 v[86:87], v[146:147], v[126:127]
	v_add_f64 v[88:89], v[148:149], v[104:105]
	;; [unrolled: 1-line block ×3, first 2 shown]
	v_add_f64 v[100:101], v[152:153], -v[116:117]
	v_add_f64 v[114:115], v[164:165], -v[168:169]
	;; [unrolled: 1-line block ×5, first 2 shown]
	v_add_f64 v[94:95], v[144:145], v[150:151]
	v_add_f64 v[98:99], v[144:145], -v[150:151]
	v_add_f64 v[102:103], v[154:155], v[160:161]
	v_add_f64 v[104:105], v[156:157], v[162:163]
	v_sub_nc_u16 v2, v128, v2
	v_add3_u32 v0, 0, v4, v5
	ds_store_b128 v6, v[62:65] offset:384
	ds_store_b128 v6, v[70:73] offset:432
	ds_store_b128 v0, v[7:10]
	ds_store_b128 v0, v[23:26] offset:48
	v_and_b32_e32 v222, 0xff, v2
	ds_store_b128 v0, v[38:41] offset:96
	ds_store_b128 v0, v[46:49] offset:144
	;; [unrolled: 1-line block ×8, first 2 shown]
	v_add3_u32 v1, 0, v1, v3
	ds_store_b128 v1, v[15:18]
	ds_store_b128 v1, v[86:89] offset:48
	ds_store_b128 v1, v[94:97] offset:96
	;; [unrolled: 1-line block ×3, first 2 shown]
	v_mul_u32_u24_e32 v0, 9, v222
	ds_store_b128 v1, v[106:109] offset:192
	ds_store_b128 v1, v[19:22] offset:240
	;; [unrolled: 1-line block ×6, first 2 shown]
	s_waitcnt lgkmcnt(0)
	s_barrier
	v_lshlrev_b32_e32 v0, 4, v0
	buffer_gl0_inv
	s_clause 0x3
	global_load_b128 v[48:51], v0, s[8:9] offset:432
	global_load_b128 v[52:55], v0, s[8:9] offset:448
	;; [unrolled: 1-line block ×4, first 2 shown]
	v_mul_lo_u16 v1, 0x89, v187
	s_clause 0x3
	global_load_b128 v[64:67], v0, s[8:9] offset:496
	global_load_b128 v[68:71], v0, s[8:9] offset:512
	;; [unrolled: 1-line block ×4, first 2 shown]
	v_lshrrev_b16 v217, 12, v1
	global_load_b128 v[80:83], v0, s[8:9] offset:560
	v_mul_lo_u16 v1, v217, 30
	s_delay_alu instid0(VALU_DEP_1) | instskip(NEXT) | instid1(VALU_DEP_1)
	v_sub_nc_u16 v1, v132, v1
	v_and_b32_e32 v218, 0xff, v1
	v_mul_u32_u24_e32 v1, 0x8889, v188
	s_delay_alu instid0(VALU_DEP_2) | instskip(NEXT) | instid1(VALU_DEP_2)
	v_mul_u32_u24_e32 v2, 9, v218
	v_lshrrev_b32_e32 v219, 20, v1
	s_delay_alu instid0(VALU_DEP_2)
	v_lshlrev_b32_e32 v12, 4, v2
	global_load_b128 v[124:127], v12, s[8:9] offset:448
	v_mul_lo_u16 v0, v219, 30
	s_clause 0x2
	global_load_b128 v[176:179], v12, s[8:9] offset:480
	global_load_b128 v[88:91], v12, s[8:9] offset:512
	;; [unrolled: 1-line block ×3, first 2 shown]
	v_sub_nc_u16 v0, v143, v0
	s_delay_alu instid0(VALU_DEP_1) | instskip(NEXT) | instid1(VALU_DEP_1)
	v_and_b32_e32 v220, 0xffff, v0
	v_mul_u32_u24_e32 v0, 9, v220
	s_delay_alu instid0(VALU_DEP_1)
	v_lshlrev_b32_e32 v36, 4, v0
	s_clause 0xd
	global_load_b128 v[92:95], v36, s[8:9] offset:448
	global_load_b128 v[96:99], v36, s[8:9] offset:480
	;; [unrolled: 1-line block ×14, first 2 shown]
	ds_load_b128 v[116:119], v211
	ds_load_b128 v[120:123], v214
	;; [unrolled: 1-line block ×3, first 2 shown]
	ds_load_b128 v[158:161], v208 offset:17280
	ds_load_b128 v[44:47], v208 offset:31680
	;; [unrolled: 1-line block ×12, first 2 shown]
	s_waitcnt vmcnt(26) lgkmcnt(14)
	v_mul_f64 v[144:145], v[118:119], v[50:51]
	v_mul_f64 v[50:51], v[116:117], v[50:51]
	s_waitcnt vmcnt(25) lgkmcnt(13)
	v_mul_f64 v[146:147], v[122:123], v[54:55]
	v_mul_f64 v[54:55], v[120:121], v[54:55]
	;; [unrolled: 3-line block ×4, first 2 shown]
	v_mul_f64 v[62:63], v[150:151], v[62:63]
	v_mul_f64 v[66:67], v[162:163], v[66:67]
	s_waitcnt vmcnt(19) lgkmcnt(5)
	v_mul_f64 v[190:191], v[204:205], v[78:79]
	v_mul_f64 v[78:79], v[202:203], v[78:79]
	;; [unrolled: 1-line block ×6, first 2 shown]
	s_waitcnt vmcnt(18) lgkmcnt(3)
	v_mul_f64 v[206:207], v[225:226], v[82:83]
	v_mul_f64 v[82:83], v[223:224], v[82:83]
	v_fma_f64 v[156:157], v[116:117], v[48:49], v[144:145]
	v_fma_f64 v[154:155], v[118:119], v[48:49], -v[50:51]
	ds_load_b128 v[48:51], v208 offset:33120
	v_fma_f64 v[144:145], v[120:121], v[52:53], v[146:147]
	v_fma_f64 v[146:147], v[122:123], v[52:53], -v[54:55]
	ds_load_b128 v[116:119], v208 offset:36000
	ds_load_b128 v[52:55], v208 offset:40320
	;; [unrolled: 1-line block ×3, first 2 shown]
	v_fma_f64 v[158:159], v[158:159], v[56:57], v[166:167]
	v_fma_f64 v[160:161], v[160:161], v[56:57], -v[58:59]
	ds_load_b128 v[56:59], v208 offset:37440
	s_waitcnt vmcnt(16)
	v_mul_f64 v[233:234], v[200:201], v[178:179]
	v_mul_f64 v[235:236], v[198:199], v[178:179]
	s_waitcnt vmcnt(15) lgkmcnt(6)
	v_mul_f64 v[178:179], v[114:115], v[90:91]
	v_fma_f64 v[162:163], v[162:163], v[64:65], v[180:181]
	v_mul_f64 v[180:181], v[112:113], v[90:91]
	v_fma_f64 v[150:151], v[150:151], v[60:61], v[148:149]
	v_fma_f64 v[148:149], v[152:153], v[60:61], -v[62:63]
	v_mul_f64 v[231:232], v[229:230], v[126:127]
	v_mul_f64 v[126:127], v[227:228], v[126:127]
	v_fma_f64 v[164:165], v[164:165], v[64:65], -v[66:67]
	ds_load_b128 v[60:63], v208 offset:14400
	ds_load_b128 v[64:67], v208 offset:5760
	v_fma_f64 v[152:153], v[202:203], v[76:77], v[190:191]
	v_fma_f64 v[90:91], v[204:205], v[76:77], -v[78:79]
	ds_load_b128 v[76:79], v208 offset:23040
	s_waitcnt vmcnt(14) lgkmcnt(6)
	v_mul_f64 v[192:193], v[118:119], v[86:87]
	v_mul_f64 v[196:197], v[116:117], v[86:87]
	s_waitcnt vmcnt(13) lgkmcnt(4)
	v_mul_f64 v[184:185], v[122:123], v[94:95]
	v_mul_f64 v[186:187], v[120:121], v[94:95]
	v_fma_f64 v[168:169], v[168:169], v[68:69], v[182:183]
	v_fma_f64 v[172:173], v[172:173], v[72:73], v[188:189]
	s_waitcnt vmcnt(12)
	v_mul_f64 v[188:189], v[106:107], v[98:99]
	v_mul_f64 v[194:195], v[104:105], v[98:99]
	s_waitcnt vmcnt(11)
	v_mul_f64 v[182:183], v[110:111], v[102:103]
	v_fma_f64 v[166:167], v[170:171], v[68:69], -v[70:71]
	ds_load_b128 v[68:71], v208 offset:7200
	v_fma_f64 v[170:171], v[174:175], v[72:73], -v[74:75]
	v_fma_f64 v[94:95], v[223:224], v[80:81], v[206:207]
	v_mul_f64 v[190:191], v[108:109], v[102:103]
	s_waitcnt vmcnt(7) lgkmcnt(4)
	v_mul_f64 v[204:205], v[58:59], v[42:43]
	s_waitcnt lgkmcnt(3)
	v_mul_f64 v[202:203], v[62:63], v[6:7]
	v_mul_f64 v[206:207], v[56:57], v[42:43]
	v_fma_f64 v[86:87], v[225:226], v[80:81], -v[82:83]
	ds_load_b128 v[80:83], v208 offset:15840
	ds_load_b128 v[72:75], v208 offset:24480
	s_waitcnt lgkmcnt(3)
	v_mul_f64 v[42:43], v[76:77], v[2:3]
	v_fma_f64 v[174:175], v[198:199], v[176:177], v[233:234]
	v_fma_f64 v[176:177], v[200:201], v[176:177], -v[235:236]
	v_mul_f64 v[198:199], v[66:67], v[10:11]
	v_mul_f64 v[200:201], v[64:65], v[10:11]
	v_fma_f64 v[112:113], v[112:113], v[88:89], v[178:179]
	v_fma_f64 v[88:89], v[114:115], v[88:89], -v[180:181]
	v_mul_f64 v[114:115], v[60:61], v[6:7]
	v_mul_f64 v[178:179], v[78:79], v[2:3]
	v_fma_f64 v[98:99], v[227:228], v[124:125], v[231:232]
	v_fma_f64 v[102:103], v[229:230], v[124:125], -v[126:127]
	ds_load_b128 v[124:127], v208 offset:41760
	s_waitcnt vmcnt(3) lgkmcnt(2)
	v_mul_f64 v[180:181], v[82:83], v[22:23]
	v_fma_f64 v[10:11], v[116:117], v[84:85], v[192:193]
	v_fma_f64 v[6:7], v[118:119], v[84:85], -v[196:197]
	v_mul_f64 v[84:85], v[46:47], v[34:35]
	v_mul_f64 v[116:117], v[44:45], v[34:35]
	;; [unrolled: 1-line block ×3, first 2 shown]
	v_fma_f64 v[34:35], v[120:121], v[92:93], v[184:185]
	v_fma_f64 v[2:3], v[122:123], v[92:93], -v[186:187]
	v_mul_f64 v[92:93], v[52:53], v[30:31]
	v_mul_f64 v[120:121], v[70:71], v[26:27]
	;; [unrolled: 1-line block ×3, first 2 shown]
	v_fma_f64 v[30:31], v[104:105], v[96:97], v[188:189]
	v_fma_f64 v[26:27], v[106:107], v[96:97], -v[194:195]
	v_mul_f64 v[96:97], v[80:81], v[22:23]
	v_fma_f64 v[22:23], v[108:109], v[100:101], v[182:183]
	v_and_b32_e32 v108, 0xffff, v221
	v_lshlrev_b32_e32 v109, 4, v222
	s_waitcnt vmcnt(2) lgkmcnt(1)
	v_mul_f64 v[104:105], v[74:75], v[18:19]
	v_mul_f64 v[106:107], v[72:73], v[18:19]
	s_waitcnt vmcnt(1)
	v_mul_f64 v[184:185], v[50:51], v[14:15]
	v_mul_u32_u24_e32 v108, 0x12c0, v108
	v_fma_f64 v[18:19], v[110:111], v[100:101], -v[190:191]
	v_mul_f64 v[14:15], v[48:49], v[14:15]
	v_fma_f64 v[182:183], v[56:57], v[40:41], v[204:205]
	v_fma_f64 v[40:41], v[58:59], v[40:41], -v[206:207]
	v_add3_u32 v231, 0, v108, v109
	ds_load_b128 v[108:111], v208
	s_waitcnt vmcnt(0) lgkmcnt(1)
	v_mul_f64 v[100:101], v[126:127], v[38:39]
	v_mul_f64 v[38:39], v[124:125], v[38:39]
	v_fma_f64 v[60:61], v[60:61], v[4:5], v[202:203]
	v_fma_f64 v[64:65], v[64:65], v[8:9], v[198:199]
	v_fma_f64 v[4:5], v[62:63], v[4:5], -v[114:115]
	v_fma_f64 v[62:63], v[76:77], v[0:1], v[178:179]
	v_fma_f64 v[0:1], v[78:79], v[0:1], -v[42:43]
	v_fma_f64 v[8:9], v[66:67], v[8:9], -v[200:201]
	v_add_f64 v[66:67], v[158:159], v[168:169]
	v_add_f64 v[78:79], v[174:175], v[112:113]
	v_add_f64 v[178:179], v[94:95], -v[172:173]
	v_add_f64 v[190:191], v[166:167], -v[90:91]
	;; [unrolled: 1-line block ×4, first 2 shown]
	v_fma_f64 v[42:43], v[44:45], v[32:33], v[84:85]
	v_fma_f64 v[32:33], v[46:47], v[32:33], -v[116:117]
	v_fma_f64 v[44:45], v[52:53], v[28:29], v[118:119]
	v_fma_f64 v[52:53], v[80:81], v[20:21], v[180:181]
	v_add_f64 v[80:81], v[98:99], v[10:11]
	v_fma_f64 v[28:29], v[54:55], v[28:29], -v[92:93]
	v_fma_f64 v[46:47], v[68:69], v[24:25], v[120:121]
	v_fma_f64 v[24:25], v[70:71], v[24:25], -v[122:123]
	v_add_f64 v[68:69], v[144:145], v[152:153]
	v_add_f64 v[70:71], v[160:161], v[166:167]
	v_fma_f64 v[20:21], v[82:83], v[20:21], -v[96:97]
	v_add_f64 v[82:83], v[176:177], v[88:89]
	v_add_f64 v[84:85], v[102:103], v[6:7]
	v_add_f64 v[92:93], v[144:145], -v[158:159]
	v_fma_f64 v[54:55], v[72:73], v[16:17], v[104:105]
	v_fma_f64 v[16:17], v[74:75], v[16:17], -v[106:107]
	v_fma_f64 v[48:49], v[48:49], v[12:13], v[184:185]
	v_add_f64 v[72:73], v[146:147], v[90:91]
	v_add_f64 v[96:97], v[158:159], -v[144:145]
	v_fma_f64 v[12:13], v[50:51], v[12:13], -v[14:15]
	v_add_f64 v[104:105], v[34:35], v[182:183]
	v_add_f64 v[106:107], v[26:27], v[18:19]
	;; [unrolled: 1-line block ×3, first 2 shown]
	v_add_f64 v[116:117], v[152:153], -v[168:169]
	v_fma_f64 v[14:15], v[124:125], v[36:37], v[100:101]
	v_fma_f64 v[36:37], v[126:127], v[36:37], -v[38:39]
	v_add_f64 v[100:101], v[30:31], v[22:23]
	v_add_f64 v[118:119], v[168:169], -v[152:153]
	v_add_f64 v[120:121], v[146:147], -v[160:161]
	;; [unrolled: 1-line block ×17, first 2 shown]
	ds_load_b128 v[56:59], v216
	ds_load_b128 v[186:189], v215
	s_waitcnt lgkmcnt(2)
	v_add_f64 v[38:39], v[108:109], v[144:145]
	v_add_f64 v[50:51], v[110:111], v[146:147]
	v_fma_f64 v[66:67], v[66:67], -0.5, v[108:109]
	v_fma_f64 v[68:69], v[68:69], -0.5, v[108:109]
	;; [unrolled: 1-line block ×3, first 2 shown]
	v_add_f64 v[192:193], v[192:193], v[194:195]
	v_add_f64 v[194:195], v[2:3], -v[26:27]
	v_add_f64 v[144:145], v[144:145], -v[152:153]
	;; [unrolled: 1-line block ×3, first 2 shown]
	s_waitcnt lgkmcnt(0)
	v_fma_f64 v[72:73], v[72:73], -0.5, v[110:111]
	s_barrier
	buffer_gl0_inv
	v_add_f64 v[92:93], v[92:93], v[116:117]
	v_add_f64 v[116:117], v[0:1], -v[4:5]
	v_add_f64 v[74:75], v[56:57], v[98:99]
	v_add_f64 v[76:77], v[58:59], v[102:103]
	;; [unrolled: 1-line block ×4, first 2 shown]
	v_fma_f64 v[78:79], v[78:79], -0.5, v[56:57]
	v_fma_f64 v[56:57], v[80:81], -0.5, v[56:57]
	v_fma_f64 v[80:81], v[82:83], -0.5, v[58:59]
	v_fma_f64 v[58:59], v[84:85], -0.5, v[58:59]
	v_add_f64 v[82:83], v[176:177], -v[102:103]
	v_add_f64 v[84:85], v[88:89], -v[6:7]
	v_fma_f64 v[100:101], v[100:101], -0.5, v[186:187]
	v_fma_f64 v[104:105], v[104:105], -0.5, v[186:187]
	;; [unrolled: 1-line block ×4, first 2 shown]
	v_add_f64 v[186:187], v[62:63], -v[60:61]
	v_add_f64 v[188:189], v[42:43], -v[44:45]
	v_add_f64 v[120:121], v[120:121], v[124:125]
	v_add_f64 v[124:125], v[32:33], -v[28:29]
	v_add_f64 v[126:127], v[126:127], v[178:179]
	;; [unrolled: 2-line block ×11, first 2 shown]
	v_add_f64 v[50:51], v[50:51], v[160:161]
	v_add_f64 v[158:159], v[158:159], -v[168:169]
	v_add_f64 v[160:161], v[160:161], -v[166:167]
	v_add_f64 v[74:75], v[74:75], v[174:175]
	v_add_f64 v[76:77], v[76:77], v[176:177]
	v_add_f64 v[176:177], v[176:177], -v[88:89]
	v_add_f64 v[174:175], v[174:175], -v[112:113]
	v_add_f64 v[108:109], v[108:109], v[30:31]
	v_add_f64 v[110:111], v[110:111], v[26:27]
	v_add_f64 v[98:99], v[98:99], -v[10:11]
	v_add_f64 v[82:83], v[82:83], v[84:85]
	v_add_f64 v[84:85], v[22:23], -v[182:183]
	v_add_f64 v[102:103], v[102:103], -v[6:7]
	v_add_f64 v[186:187], v[186:187], v[188:189]
	v_add_f64 v[188:189], v[26:27], -v[2:3]
	v_add_f64 v[116:117], v[116:117], v[124:125]
	v_add_f64 v[124:125], v[18:19], -v[40:41]
	v_add_f64 v[26:27], v[26:27], -v[18:19]
	;; [unrolled: 1-line block ×3, first 2 shown]
	v_add_f64 v[178:179], v[178:179], v[184:185]
	v_add_f64 v[184:185], v[30:31], -v[34:35]
	v_add_f64 v[30:31], v[30:31], -v[22:23]
	;; [unrolled: 1-line block ×3, first 2 shown]
	v_add_f64 v[118:119], v[118:119], v[190:191]
	v_add_f64 v[190:191], v[16:17], -v[20:21]
	v_add_f64 v[194:195], v[194:195], v[198:199]
	v_add_f64 v[198:199], v[12:13], -v[36:37]
	;; [unrolled: 2-line block ×4, first 2 shown]
	v_add_f64 v[38:39], v[38:39], v[168:169]
	v_add_f64 v[168:169], v[62:63], v[42:43]
	;; [unrolled: 1-line block ×9, first 2 shown]
	v_fma_f64 v[108:109], v[160:161], s[0:1], v[68:69]
	v_fma_f64 v[68:69], v[160:161], s[14:15], v[68:69]
	v_add_f64 v[18:19], v[110:111], v[18:19]
	v_fma_f64 v[110:111], v[158:159], s[14:15], v[72:73]
	v_fma_f64 v[72:73], v[158:159], s[0:1], v[72:73]
	v_add_f64 v[124:125], v[188:189], v[124:125]
	v_add_f64 v[188:189], v[150:151], v[94:95]
	;; [unrolled: 1-line block ×8, first 2 shown]
	v_fma_f64 v[168:169], v[168:169], -0.5, v[64:65]
	v_add_f64 v[38:39], v[38:39], v[152:153]
	v_fma_f64 v[166:167], v[166:167], -0.5, v[64:65]
	v_add_f64 v[64:65], v[64:65], v[60:61]
	v_fma_f64 v[112:113], v[112:113], -0.5, v[24:25]
	v_add_f64 v[60:61], v[60:61], -v[44:45]
	v_fma_f64 v[88:89], v[88:89], -0.5, v[24:25]
	v_add_f64 v[24:25], v[24:25], v[20:21]
	v_add_f64 v[20:21], v[20:21], -v[36:37]
	v_add_f64 v[50:51], v[50:51], v[90:91]
	v_fma_f64 v[90:91], v[146:147], s[14:15], v[66:67]
	v_fma_f64 v[66:67], v[146:147], s[0:1], v[66:67]
	v_add_f64 v[74:75], v[74:75], v[10:11]
	v_fma_f64 v[10:11], v[176:177], s[0:1], v[56:57]
	v_fma_f64 v[56:57], v[176:177], s[14:15], v[56:57]
	;; [unrolled: 1-line block ×6, first 2 shown]
	v_fma_f64 v[188:189], v[188:189], -0.5, v[156:157]
	v_add_f64 v[76:77], v[76:77], v[6:7]
	v_fma_f64 v[6:7], v[102:103], s[14:15], v[78:79]
	v_fma_f64 v[78:79], v[102:103], s[0:1], v[78:79]
	v_fma_f64 v[184:185], v[184:185], -0.5, v[156:157]
	v_add_f64 v[156:157], v[156:157], v[150:151]
	v_add_f64 v[150:151], v[150:151], -v[94:95]
	v_add_f64 v[182:183], v[22:23], v[182:183]
	v_fma_f64 v[22:23], v[30:31], s[14:15], v[114:115]
	v_fma_f64 v[114:115], v[30:31], s[0:1], v[114:115]
	v_fma_f64 v[198:199], v[198:199], -0.5, v[154:155]
	v_add_f64 v[229:230], v[18:19], v[40:41]
	v_fma_f64 v[227:228], v[227:228], -0.5, v[154:155]
	v_add_f64 v[154:155], v[154:155], v[148:149]
	v_add_f64 v[148:149], v[148:149], -v[86:87]
	v_add_f64 v[64:65], v[64:65], v[62:63]
	v_add_f64 v[62:63], v[62:63], -v[42:43]
	;; [unrolled: 2-line block ×3, first 2 shown]
	v_fma_f64 v[90:91], v[160:161], s[16:17], v[90:91]
	v_fma_f64 v[66:67], v[160:161], s[12:13], v[66:67]
	;; [unrolled: 1-line block ×10, first 2 shown]
	v_add_f64 v[156:157], v[156:157], v[162:163]
	v_add_f64 v[162:163], v[162:163], -v[172:173]
	v_fma_f64 v[22:23], v[34:35], s[12:13], v[22:23]
	v_fma_f64 v[34:35], v[34:35], s[16:17], v[114:115]
	;; [unrolled: 1-line block ×4, first 2 shown]
	v_add_f64 v[154:155], v[154:155], v[164:165]
	v_add_f64 v[164:165], v[164:165], -v[170:171]
	v_add_f64 v[42:43], v[64:65], v[42:43]
	v_add_f64 v[64:65], v[54:55], v[48:49]
	;; [unrolled: 1-line block ×3, first 2 shown]
	v_fma_f64 v[66:67], v[92:93], s[18:19], v[66:67]
	v_fma_f64 v[102:103], v[30:31], s[16:17], v[102:103]
	;; [unrolled: 1-line block ×4, first 2 shown]
	v_add_f64 v[156:157], v[156:157], v[172:173]
	v_add_f64 v[172:173], v[0:1], v[32:33]
	v_fma_f64 v[24:25], v[162:163], s[14:15], v[227:228]
	v_fma_f64 v[227:228], v[162:163], s[0:1], v[227:228]
	;; [unrolled: 1-line block ×4, first 2 shown]
	v_add_f64 v[154:155], v[154:155], v[170:171]
	v_add_f64 v[170:171], v[4:5], v[28:29]
	;; [unrolled: 1-line block ×3, first 2 shown]
	v_fma_f64 v[64:65], v[64:65], -0.5, v[46:47]
	v_fma_f64 v[44:45], v[174:175], s[14:15], v[58:59]
	v_fma_f64 v[58:59], v[174:175], s[0:1], v[58:59]
	;; [unrolled: 1-line block ×3, first 2 shown]
	v_add_f64 v[94:95], v[156:157], v[94:95]
	v_fma_f64 v[172:173], v[172:173], -0.5, v[8:9]
	v_fma_f64 v[156:157], v[144:145], s[0:1], v[70:71]
	v_fma_f64 v[70:71], v[144:145], s[14:15], v[70:71]
	;; [unrolled: 1-line block ×5, first 2 shown]
	v_add_f64 v[86:87], v[154:155], v[86:87]
	v_fma_f64 v[170:171], v[170:171], -0.5, v[8:9]
	v_add_f64 v[8:9], v[8:9], v[4:5]
	v_add_f64 v[4:5], v[4:5], -v[28:29]
	v_fma_f64 v[154:155], v[148:149], s[14:15], v[184:185]
	v_fma_f64 v[184:185], v[148:149], s[0:1], v[184:185]
	;; [unrolled: 1-line block ×11, first 2 shown]
	v_add_f64 v[8:9], v[8:9], v[0:1]
	v_add_f64 v[0:1], v[0:1], -v[32:33]
	v_fma_f64 v[170:171], v[62:63], s[0:1], v[170:171]
	v_fma_f64 v[154:155], v[164:165], s[16:17], v[154:155]
	v_fma_f64 v[106:107], v[62:63], s[12:13], v[144:145]
	v_fma_f64 v[62:63], v[62:63], s[16:17], v[172:173]
	v_fma_f64 v[70:71], v[120:121], s[18:19], v[70:71]
	v_fma_f64 v[144:145], v[60:61], s[12:13], v[146:147]
	v_add_f64 v[8:9], v[8:9], v[32:33]
	v_add_f64 v[32:33], v[52:53], v[14:15]
	v_fma_f64 v[227:228], v[0:1], s[0:1], v[166:167]
	v_fma_f64 v[166:167], v[0:1], s[14:15], v[166:167]
	;; [unrolled: 1-line block ×3, first 2 shown]
	v_add_f64 v[170:171], v[12:13], v[36:37]
	v_add_f64 v[12:13], v[74:75], -v[42:43]
	v_fma_f64 v[36:37], v[176:177], s[16:17], v[6:7]
	v_add_f64 v[6:7], v[50:51], -v[86:87]
	v_add_f64 v[28:29], v[8:9], v[28:29]
	v_fma_f64 v[32:33], v[32:33], -0.5, v[46:47]
	v_add_f64 v[46:47], v[46:47], v[52:53]
	v_add_f64 v[52:53], v[52:53], -v[14:15]
	v_fma_f64 v[8:9], v[98:99], s[0:1], v[80:81]
	v_fma_f64 v[80:81], v[98:99], s[14:15], v[80:81]
	;; [unrolled: 1-line block ×8, first 2 shown]
	v_add_f64 v[46:47], v[46:47], v[54:55]
	v_add_f64 v[54:55], v[54:55], -v[48:49]
	v_fma_f64 v[158:159], v[52:53], s[0:1], v[112:113]
	v_fma_f64 v[112:113], v[52:53], s[14:15], v[112:113]
	;; [unrolled: 1-line block ×5, first 2 shown]
	v_add_f64 v[8:9], v[74:75], v[42:43]
	v_fma_f64 v[74:75], v[92:93], s[18:19], v[90:91]
	v_fma_f64 v[90:91], v[178:179], s[18:19], v[56:57]
	;; [unrolled: 1-line block ×6, first 2 shown]
	v_add_f64 v[46:47], v[46:47], v[48:49]
	v_fma_f64 v[48:49], v[164:165], s[0:1], v[188:189]
	v_fma_f64 v[188:189], v[164:165], s[14:15], v[188:189]
	;; [unrolled: 1-line block ×11, first 2 shown]
	v_mul_f64 v[144:145], v[24:25], s[14:15]
	v_mul_f64 v[24:25], v[24:25], s[18:19]
	v_fma_f64 v[80:81], v[200:201], s[18:19], v[80:81]
	v_add_f64 v[46:47], v[46:47], v[14:15]
	v_fma_f64 v[48:49], v[148:149], s[16:17], v[48:49]
	v_fma_f64 v[148:149], v[148:149], s[12:13], v[188:189]
	;; [unrolled: 1-line block ×16, first 2 shown]
	v_mul_f64 v[154:155], v[162:163], s[16:17]
	v_mul_f64 v[160:161], v[162:163], s[24:25]
	v_add_f64 v[10:11], v[76:77], v[28:29]
	v_add_f64 v[14:15], v[76:77], -v[28:29]
	v_fma_f64 v[28:29], v[223:224], s[18:19], v[158:159]
	v_fma_f64 v[54:55], v[223:224], s[18:19], v[54:55]
	v_add_f64 v[2:3], v[50:51], v[86:87]
	v_fma_f64 v[50:51], v[96:97], s[18:19], v[108:109]
	v_mul_f64 v[108:109], v[112:113], s[18:19]
	v_fma_f64 v[76:77], v[120:121], s[18:19], v[156:157]
	v_fma_f64 v[86:87], v[178:179], s[18:19], v[40:41]
	;; [unrolled: 1-line block ×5, first 2 shown]
	v_add_f64 v[36:37], v[182:183], -v[46:47]
	v_fma_f64 v[48:49], v[192:193], s[18:19], v[48:49]
	v_fma_f64 v[64:65], v[192:193], s[18:19], v[148:149]
	;; [unrolled: 1-line block ×4, first 2 shown]
	v_add_f64 v[0:1], v[38:39], v[94:95]
	v_mul_f64 v[116:117], v[4:5], s[16:17]
	v_mul_f64 v[126:127], v[4:5], s[20:21]
	v_add_f64 v[4:5], v[38:39], -v[94:95]
	v_fma_f64 v[38:39], v[225:226], s[18:19], v[62:63]
	v_mul_f64 v[148:149], v[150:151], s[14:15]
	v_mul_f64 v[150:151], v[150:151], s[22:23]
	v_fma_f64 v[42:43], v[190:191], s[18:19], v[174:175]
	v_fma_f64 v[52:53], v[190:191], s[18:19], v[52:53]
	;; [unrolled: 1-line block ×3, first 2 shown]
	v_mul_f64 v[94:95], v[98:99], s[16:17]
	v_mul_f64 v[96:97], v[98:99], s[20:21]
	;; [unrolled: 1-line block ×3, first 2 shown]
	v_fma_f64 v[68:69], v[122:123], s[18:19], v[110:111]
	v_fma_f64 v[122:123], v[114:115], s[24:25], v[154:155]
	;; [unrolled: 1-line block ×3, first 2 shown]
	v_mul_f64 v[110:111], v[60:61], s[14:15]
	v_mul_f64 v[60:61], v[60:61], s[22:23]
	v_fma_f64 v[58:59], v[202:203], s[18:19], v[30:31]
	v_mul_f64 v[154:155], v[28:29], s[16:17]
	v_mul_f64 v[156:157], v[28:29], s[20:21]
	;; [unrolled: 1-line block ×4, first 2 shown]
	v_fma_f64 v[172:173], v[84:85], s[18:19], v[88:89]
	v_fma_f64 v[84:85], v[84:85], s[18:19], v[104:105]
	;; [unrolled: 1-line block ×6, first 2 shown]
	v_add_f64 v[32:33], v[182:183], v[46:47]
	v_add_f64 v[34:35], v[229:230], v[170:171]
	v_fma_f64 v[56:57], v[204:205], s[18:19], v[152:153]
	v_fma_f64 v[152:153], v[202:203], s[18:19], v[16:17]
	;; [unrolled: 1-line block ×6, first 2 shown]
	v_mul_f64 v[144:145], v[38:39], s[16:17]
	v_mul_f64 v[38:39], v[38:39], s[24:25]
	v_fma_f64 v[48:49], v[48:49], s[0:1], v[24:25]
	v_fma_f64 v[120:121], v[64:65], s[22:23], v[148:149]
	;; [unrolled: 1-line block ×5, first 2 shown]
	v_mul_f64 v[158:159], v[42:43], s[14:15]
	v_mul_f64 v[42:43], v[42:43], s[18:19]
	v_mul_f64 v[160:161], v[52:53], s[14:15]
	v_mul_f64 v[52:53], v[52:53], s[22:23]
	v_fma_f64 v[168:169], v[194:195], s[18:19], v[26:27]
	v_add_f64 v[28:29], v[66:67], v[122:123]
	v_add_f64 v[30:31], v[70:71], v[114:115]
	v_fma_f64 v[118:119], v[58:59], s[20:21], v[154:155]
	v_fma_f64 v[88:89], v[56:57], s[20:21], v[94:95]
	;; [unrolled: 1-line block ×4, first 2 shown]
	v_add_f64 v[16:17], v[74:75], v[112:113]
	v_add_f64 v[18:19], v[76:77], v[106:107]
	;; [unrolled: 1-line block ×3, first 2 shown]
	v_fma_f64 v[98:99], v[40:41], s[0:1], v[108:109]
	v_fma_f64 v[104:105], v[126:127], s[24:25], v[144:145]
	;; [unrolled: 1-line block ×3, first 2 shown]
	v_add_f64 v[22:23], v[68:69], v[48:49]
	v_add_f64 v[24:25], v[62:63], v[120:121]
	;; [unrolled: 1-line block ×3, first 2 shown]
	v_fma_f64 v[108:109], v[44:45], s[22:23], v[110:111]
	v_fma_f64 v[110:111], v[44:45], s[0:1], v[60:61]
	;; [unrolled: 1-line block ×9, first 2 shown]
	v_add_f64 v[40:41], v[74:75], -v[112:113]
	v_add_f64 v[42:43], v[76:77], -v[106:107]
	;; [unrolled: 1-line block ×4, first 2 shown]
	ds_store_b128 v231, v[0:3]
	ds_store_b128 v231, v[16:19] offset:480
	ds_store_b128 v231, v[20:23] offset:960
	;; [unrolled: 1-line block ×5, first 2 shown]
	v_add_f64 v[0:1], v[78:79], v[104:105]
	v_add_f64 v[2:3], v[80:81], v[38:39]
	v_add_f64 v[48:49], v[62:63], -v[120:121]
	v_add_f64 v[50:51], v[72:73], -v[64:65]
	;; [unrolled: 1-line block ×8, first 2 shown]
	v_add_f64 v[56:57], v[146:147], v[88:89]
	v_add_f64 v[58:59], v[164:165], v[94:95]
	v_add_f64 v[64:65], v[86:87], v[96:97]
	v_add_f64 v[66:67], v[92:93], v[98:99]
	v_add_f64 v[68:69], v[90:91], v[108:109]
	v_add_f64 v[70:71], v[82:83], v[110:111]
	v_add_f64 v[16:17], v[90:91], -v[108:109]
	v_add_f64 v[18:19], v[82:83], -v[110:111]
	v_add_f64 v[28:29], v[172:173], v[144:145]
	v_add_f64 v[30:31], v[174:175], v[148:149]
	v_add_f64 v[88:89], v[166:167], -v[118:119]
	v_add_f64 v[90:91], v[168:169], -v[126:127]
	;; [unrolled: 1-line block ×6, first 2 shown]
	v_add_f64 v[72:73], v[84:85], v[154:155]
	v_add_f64 v[74:75], v[124:125], v[150:151]
	;; [unrolled: 1-line block ×4, first 2 shown]
	v_add_f64 v[92:93], v[172:173], -v[144:145]
	v_add_f64 v[94:95], v[174:175], -v[148:149]
	;; [unrolled: 1-line block ×4, first 2 shown]
	v_add_f64 v[24:25], v[166:167], v[118:119]
	v_add_f64 v[26:27], v[168:169], v[126:127]
	v_add_f64 v[38:39], v[229:230], -v[170:171]
	v_and_b32_e32 v80, 0xffff, v217
	v_lshlrev_b32_e32 v81, 4, v218
	v_dual_mov_b32 v83, 0 :: v_dual_lshlrev_b32 v82, 1, v128
	v_lshl_add_u32 v85, v141, 4, 0
	s_delay_alu instid0(VALU_DEP_4) | instskip(SKIP_2) | instid1(VALU_DEP_2)
	v_mul_u32_u24_e32 v80, 0x12c0, v80
	v_lshl_add_u32 v84, v140, 4, 0
	s_add_u32 s1, s8, 0xa890
	v_add3_u32 v80, 0, v80, v81
	ds_store_b128 v231, v[40:43] offset:2880
	ds_store_b128 v231, v[44:47] offset:3360
	;; [unrolled: 1-line block ×4, first 2 shown]
	ds_store_b128 v80, v[8:11]
	ds_store_b128 v80, v[56:59] offset:480
	ds_store_b128 v80, v[64:67] offset:960
	;; [unrolled: 1-line block ×3, first 2 shown]
	v_mul_u32_u24_e32 v8, 0x12c0, v219
	v_lshlrev_b32_e32 v9, 4, v220
	ds_store_b128 v80, v[0:3] offset:1920
	ds_store_b128 v80, v[12:15] offset:2400
	;; [unrolled: 1-line block ×4, first 2 shown]
	v_lshlrev_b64 v[0:1], 4, v[82:83]
	v_mov_b32_e32 v3, v83
	v_add3_u32 v2, 0, v8, v9
	ds_store_b128 v80, v[16:19] offset:3840
	ds_store_b128 v80, v[20:23] offset:4320
	ds_store_b128 v2, v[32:35]
	ds_store_b128 v2, v[24:27] offset:480
	v_add_co_u32 v86, s0, s8, v0
	s_delay_alu instid0(VALU_DEP_1)
	v_add_co_ci_u32_e64 v87, s0, s9, v1, s0
	ds_store_b128 v2, v[28:31] offset:960
	ds_store_b128 v2, v[72:75] offset:1440
	;; [unrolled: 1-line block ×8, first 2 shown]
	v_lshlrev_b32_e32 v2, 1, v132
	v_add_co_u32 v0, s0, 0x1000, v86
	s_delay_alu instid0(VALU_DEP_1) | instskip(SKIP_1) | instid1(VALU_DEP_4)
	v_add_co_ci_u32_e64 v1, s0, 0, v87, s0
	v_add_co_u32 v4, s0, 0x1290, v86
	v_lshlrev_b64 v[2:3], 4, v[2:3]
	v_add_co_ci_u32_e64 v5, s0, 0, v87, s0
	s_waitcnt lgkmcnt(0)
	s_barrier
	buffer_gl0_inv
	s_clause 0x1
	global_load_b128 v[20:23], v[0:1], off offset:656
	global_load_b128 v[16:19], v[4:5], off offset:16
	v_add_co_u32 v88, s0, s8, v2
	v_dual_mov_b32 v1, v83 :: v_dual_lshlrev_b32 v0, 1, v143
	v_add_co_ci_u32_e64 v89, s0, s9, v3, s0
	s_delay_alu instid0(VALU_DEP_3) | instskip(NEXT) | instid1(VALU_DEP_3)
	v_add_co_u32 v2, s0, 0x1000, v88
	v_lshlrev_b64 v[0:1], 4, v[0:1]
	s_delay_alu instid0(VALU_DEP_3) | instskip(SKIP_1) | instid1(VALU_DEP_1)
	v_add_co_ci_u32_e64 v3, s0, 0, v89, s0
	v_add_co_u32 v4, s0, 0x1290, v88
	v_add_co_ci_u32_e64 v5, s0, 0, v89, s0
	s_delay_alu instid0(VALU_DEP_4) | instskip(NEXT) | instid1(VALU_DEP_1)
	v_add_co_u32 v90, s0, s8, v0
	v_add_co_ci_u32_e64 v91, s0, s9, v1, s0
	v_subrev_nc_u32_e32 v6, 30, v128
	v_cmp_gt_u32_e64 s0, 30, v128
	v_mov_b32_e32 v7, v83
	v_lshrrev_b16 v27, 2, v137
	v_lshrrev_b16 v30, 2, v136
	s_delay_alu instid0(VALU_DEP_4) | instskip(SKIP_1) | instid1(VALU_DEP_1)
	v_cndmask_b32_e64 v92, v6, v142, s0
	v_add_co_u32 v0, s0, 0x1000, v90
	v_add_co_ci_u32_e64 v1, s0, 0, v91, s0
	s_delay_alu instid0(VALU_DEP_3) | instskip(SKIP_1) | instid1(VALU_DEP_1)
	v_lshlrev_b32_e32 v6, 1, v92
	v_add_co_u32 v8, s0, 0x1290, v90
	v_add_co_ci_u32_e64 v9, s0, 0, v91, s0
	s_delay_alu instid0(VALU_DEP_3)
	v_lshlrev_b64 v[6:7], 4, v[6:7]
	s_clause 0x3
	global_load_b128 v[68:71], v[2:3], off offset:656
	global_load_b128 v[64:67], v[4:5], off offset:16
	;; [unrolled: 1-line block ×4, first 2 shown]
	v_dual_mov_b32 v1, v83 :: v_dual_add_nc_u32 v0, 0x78, v82
	v_add_nc_u32_e32 v82, 0x12c, v82
	v_and_b32_e32 v30, 0xffff, v30
	v_add_co_u32 v4, s0, s8, v6
	v_lshrrev_b16 v6, 2, v139
	v_add_co_ci_u32_e64 v5, s0, s9, v7, s0
	s_delay_alu instid0(VALU_DEP_3) | instskip(SKIP_1) | instid1(VALU_DEP_4)
	v_add_co_u32 v2, s0, 0x1000, v4
	v_lshlrev_b64 v[0:1], 4, v[0:1]
	v_and_b32_e32 v6, 0xffff, v6
	s_delay_alu instid0(VALU_DEP_4) | instskip(SKIP_1) | instid1(VALU_DEP_1)
	v_add_co_ci_u32_e64 v3, s0, 0, v5, s0
	v_add_co_u32 v4, s0, 0x1290, v4
	v_add_co_ci_u32_e64 v5, s0, 0, v5, s0
	v_add_co_u32 v7, s0, s8, v0
	v_mul_u32_u24_e32 v6, 0x6d3b, v6
	v_add_co_ci_u32_e64 v9, s0, s9, v1, s0
	s_delay_alu instid0(VALU_DEP_3)
	v_add_co_u32 v0, s0, 0x1000, v7
	s_clause 0x1
	global_load_b128 v[78:81], v[2:3], off offset:656
	global_load_b128 v[74:77], v[4:5], off offset:16
	v_lshlrev_b64 v[2:3], 4, v[82:83]
	v_lshrrev_b32_e32 v82, 21, v6
	v_lshrrev_b16 v4, 2, v138
	v_add_co_ci_u32_e64 v1, s0, 0, v9, s0
	v_add_co_u32 v8, s0, 0x1290, v7
	s_delay_alu instid0(VALU_DEP_1) | instskip(SKIP_3) | instid1(VALU_DEP_1)
	v_add_co_ci_u32_e64 v9, s0, 0, v9, s0
	v_mul_lo_u16 v5, 0x12c, v82
	v_and_b32_e32 v4, 0xffff, v4
	v_add_co_u32 v2, s0, s8, v2
	v_add_co_ci_u32_e64 v3, s0, s9, v3, s0
	s_delay_alu instid0(VALU_DEP_4) | instskip(NEXT) | instid1(VALU_DEP_4)
	v_sub_nc_u16 v5, v139, v5
	v_mul_u32_u24_e32 v4, 0x6d3b, v4
	s_delay_alu instid0(VALU_DEP_4) | instskip(NEXT) | instid1(VALU_DEP_1)
	v_add_co_u32 v10, s0, 0x1000, v2
	v_add_co_ci_u32_e64 v11, s0, 0, v3, s0
	v_add_co_u32 v24, s0, 0x1290, v2
	v_and_b32_e32 v93, 0xffff, v5
	v_lshrrev_b32_e32 v12, 21, v4
	v_add_co_ci_u32_e64 v25, s0, 0, v3, s0
	s_clause 0x1
	global_load_b128 v[4:7], v[0:1], off offset:656
	global_load_b128 v[0:3], v[8:9], off offset:16
	v_lshlrev_b32_e32 v28, 5, v93
	v_mul_lo_u16 v26, 0x12c, v12
	s_clause 0x1
	global_load_b128 v[12:15], v[10:11], off offset:656
	global_load_b128 v[8:11], v[24:25], off offset:16
	v_and_b32_e32 v25, 0xffff, v27
	v_mul_u32_u24_e32 v30, 0x6d3b, v30
	v_lshlrev_b32_e32 v92, 4, v92
	v_sub_nc_u16 v24, v138, v26
	v_add_co_u32 v26, s0, s8, v28
	v_mul_u32_u24_e32 v28, 0x6d3b, v25
	v_add_co_ci_u32_e64 v27, null, s9, 0, s0
	s_delay_alu instid0(VALU_DEP_4) | instskip(NEXT) | instid1(VALU_DEP_4)
	v_and_b32_e32 v94, 0xffff, v24
	v_add_co_u32 v24, s0, 0x1000, v26
	s_delay_alu instid0(VALU_DEP_4) | instskip(NEXT) | instid1(VALU_DEP_4)
	v_lshrrev_b32_e32 v28, 21, v28
	v_add_co_ci_u32_e64 v25, s0, 0, v27, s0
	s_delay_alu instid0(VALU_DEP_4) | instskip(SKIP_1) | instid1(VALU_DEP_4)
	v_lshlrev_b32_e32 v29, 5, v94
	v_add_co_u32 v26, s0, 0x1290, v26
	v_mul_lo_u16 v28, 0x12c, v28
	v_add_co_ci_u32_e64 v27, s0, 0, v27, s0
	s_delay_alu instid0(VALU_DEP_4) | instskip(NEXT) | instid1(VALU_DEP_3)
	v_add_co_u32 v29, s0, s8, v29
	v_sub_nc_u16 v28, v137, v28
	v_add_co_ci_u32_e64 v31, null, s9, 0, s0
	s_delay_alu instid0(VALU_DEP_3) | instskip(NEXT) | instid1(VALU_DEP_3)
	v_add_co_u32 v32, s0, 0x1000, v29
	v_and_b32_e32 v96, 0xffff, v28
	v_lshrrev_b32_e32 v28, 21, v30
	s_delay_alu instid0(VALU_DEP_4) | instskip(SKIP_1) | instid1(VALU_DEP_3)
	v_add_co_ci_u32_e64 v33, s0, 0, v31, s0
	v_add_co_u32 v40, s0, 0x1290, v29
	v_mul_lo_u16 v42, 0x12c, v28
	v_add_co_ci_u32_e64 v41, s0, 0, v31, s0
	v_lshlrev_b32_e32 v43, 5, v96
	s_clause 0x3
	global_load_b128 v[36:39], v[24:25], off offset:656
	global_load_b128 v[28:31], v[26:27], off offset:16
	global_load_b128 v[32:35], v[32:33], off offset:656
	global_load_b128 v[24:27], v[40:41], off offset:16
	v_sub_nc_u16 v40, v136, v42
	v_add_co_u32 v42, s0, s8, v43
	s_delay_alu instid0(VALU_DEP_1) | instskip(NEXT) | instid1(VALU_DEP_3)
	v_add_co_ci_u32_e64 v43, null, s9, 0, s0
	v_and_b32_e32 v95, 0xffff, v40
	s_delay_alu instid0(VALU_DEP_3) | instskip(NEXT) | instid1(VALU_DEP_1)
	v_add_co_u32 v40, s0, 0x1000, v42
	v_add_co_ci_u32_e64 v41, s0, 0, v43, s0
	s_delay_alu instid0(VALU_DEP_3) | instskip(SKIP_1) | instid1(VALU_DEP_1)
	v_lshlrev_b32_e32 v44, 5, v95
	v_add_co_u32 v42, s0, 0x1290, v42
	v_add_co_ci_u32_e64 v43, s0, 0, v43, s0
	s_delay_alu instid0(VALU_DEP_3) | instskip(NEXT) | instid1(VALU_DEP_1)
	v_add_co_u32 v50, s0, s8, v44
	v_add_co_ci_u32_e64 v51, null, s9, 0, s0
	s_clause 0x1
	global_load_b128 v[44:47], v[40:41], off offset:656
	global_load_b128 v[40:43], v[42:43], off offset:16
	v_add_co_u32 v48, s0, 0x1000, v50
	s_delay_alu instid0(VALU_DEP_1) | instskip(SKIP_1) | instid1(VALU_DEP_1)
	v_add_co_ci_u32_e64 v49, s0, 0, v51, s0
	v_add_co_u32 v52, s0, 0x1290, v50
	v_add_co_ci_u32_e64 v53, s0, 0, v51, s0
	s_clause 0x1
	global_load_b128 v[48:51], v[48:49], off offset:656
	global_load_b128 v[52:55], v[52:53], off offset:16
	ds_load_b128 v[97:100], v208 offset:14400
	ds_load_b128 v[101:104], v208 offset:28800
	;; [unrolled: 1-line block ×9, first 2 shown]
	v_cmp_lt_u32_e64 s0, 29, v128
	s_waitcnt vmcnt(19) lgkmcnt(8)
	v_mul_f64 v[125:126], v[99:100], v[22:23]
	v_mul_f64 v[22:23], v[97:98], v[22:23]
	s_waitcnt vmcnt(18) lgkmcnt(7)
	v_mul_f64 v[192:193], v[103:104], v[18:19]
	v_mul_f64 v[18:19], v[101:102], v[18:19]
	;; [unrolled: 3-line block ×6, first 2 shown]
	v_fma_f64 v[58:59], v[97:98], v[20:21], v[125:126]
	ds_load_b128 v[152:155], v208 offset:20160
	ds_load_b128 v[156:159], v208 offset:21600
	;; [unrolled: 1-line block ×4, first 2 shown]
	ds_load_b128 v[70:73], v211
	ds_load_b128 v[168:171], v208 offset:23040
	ds_load_b128 v[172:175], v208 offset:24480
	;; [unrolled: 1-line block ×6, first 2 shown]
	v_fma_f64 v[62:63], v[99:100], v[20:21], -v[22:23]
	v_fma_f64 v[20:21], v[101:102], v[16:17], v[192:193]
	v_fma_f64 v[22:23], v[103:104], v[16:17], -v[18:19]
	ds_load_b128 v[97:100], v208 offset:41760
	ds_load_b128 v[16:19], v208
	s_waitcnt vmcnt(13)
	v_mul_f64 v[219:220], v[123:124], v[80:81]
	s_waitcnt vmcnt(12) lgkmcnt(14)
	v_mul_f64 v[125:126], v[146:147], v[76:77]
	v_mul_f64 v[80:81], v[121:122], v[80:81]
	;; [unrolled: 1-line block ×3, first 2 shown]
	v_fma_f64 v[66:67], v[105:106], v[68:69], v[194:195]
	v_fma_f64 v[68:69], v[107:108], v[68:69], -v[196:197]
	s_waitcnt vmcnt(11) lgkmcnt(12)
	v_mul_f64 v[101:102], v[154:155], v[6:7]
	v_mul_f64 v[103:104], v[152:153], v[6:7]
	s_waitcnt vmcnt(10)
	v_mul_f64 v[105:106], v[150:151], v[2:3]
	v_mul_f64 v[107:108], v[148:149], v[2:3]
	s_waitcnt vmcnt(9) lgkmcnt(11)
	v_mul_f64 v[192:193], v[158:159], v[14:15]
	v_mul_f64 v[194:195], v[156:157], v[14:15]
	v_fma_f64 v[2:3], v[109:110], v[64:65], v[198:199]
	v_fma_f64 v[6:7], v[111:112], v[64:65], -v[200:201]
	s_waitcnt vmcnt(8) lgkmcnt(10)
	v_mul_f64 v[64:65], v[162:163], v[10:11]
	v_mul_f64 v[196:197], v[160:161], v[10:11]
	v_fma_f64 v[200:201], v[113:114], v[60:61], v[202:203]
	v_fma_f64 v[60:61], v[115:116], v[60:61], -v[204:205]
	v_fma_f64 v[10:11], v[117:118], v[56:57], v[206:207]
	v_fma_f64 v[14:15], v[119:120], v[56:57], -v[217:218]
	;; [unrolled: 2-line block ×4, first 2 shown]
	s_waitcnt vmcnt(7) lgkmcnt(7)
	v_mul_f64 v[198:199], v[170:171], v[38:39]
	v_mul_f64 v[38:39], v[168:169], v[38:39]
	s_waitcnt vmcnt(6)
	v_mul_f64 v[202:203], v[166:167], v[30:31]
	v_mul_f64 v[204:205], v[164:165], v[30:31]
	s_waitcnt vmcnt(5) lgkmcnt(6)
	v_mul_f64 v[221:222], v[174:175], v[34:35]
	v_mul_f64 v[34:35], v[172:173], v[34:35]
	s_waitcnt vmcnt(4) lgkmcnt(5)
	v_mul_f64 v[56:57], v[178:179], v[26:27]
	v_mul_f64 v[206:207], v[176:177], v[26:27]
	v_fma_f64 v[26:27], v[144:145], v[74:75], v[125:126]
	v_fma_f64 v[30:31], v[146:147], v[74:75], -v[76:77]
	v_fma_f64 v[146:147], v[152:153], v[4:5], v[101:102]
	v_fma_f64 v[4:5], v[154:155], v[4:5], -v[103:104]
	v_fma_f64 v[150:151], v[156:157], v[12:13], v[192:193]
	v_fma_f64 v[12:13], v[158:159], v[12:13], -v[194:195]
	v_fma_f64 v[64:65], v[160:161], v[8:9], v[64:65]
	v_fma_f64 v[152:153], v[162:163], v[8:9], -v[196:197]
	v_add_f64 v[156:157], v[66:67], v[2:3]
	ds_load_b128 v[74:77], v216
	ds_load_b128 v[78:81], v215
	;; [unrolled: 1-line block ×4, first 2 shown]
	v_add_f64 v[158:159], v[68:69], v[6:7]
	v_add_f64 v[192:193], v[60:61], -v[14:15]
	v_add_f64 v[196:197], v[200:201], -v[10:11]
	s_waitcnt vmcnt(3) lgkmcnt(7)
	v_mul_f64 v[217:218], v[186:187], v[46:47]
	v_mul_f64 v[46:47], v[184:185], v[46:47]
	s_waitcnt vmcnt(2)
	v_mul_f64 v[225:226], v[182:183], v[42:43]
	v_mul_f64 v[42:43], v[180:181], v[42:43]
	s_waitcnt vmcnt(1) lgkmcnt(6)
	v_mul_f64 v[227:228], v[190:191], v[50:51]
	v_mul_f64 v[50:51], v[188:189], v[50:51]
	s_waitcnt vmcnt(0) lgkmcnt(5)
	v_mul_f64 v[125:126], v[99:100], v[54:55]
	v_mul_f64 v[144:145], v[97:98], v[54:55]
	v_lshl_add_u32 v55, v138, 4, 0
	v_fma_f64 v[8:9], v[168:169], v[36:37], v[198:199]
	v_fma_f64 v[36:37], v[170:171], v[36:37], -v[38:39]
	v_fma_f64 v[38:39], v[164:165], v[28:29], v[202:203]
	v_fma_f64 v[28:29], v[166:167], v[28:29], -v[204:205]
	;; [unrolled: 2-line block ×4, first 2 shown]
	v_lshl_add_u32 v54, v137, 4, 0
	ds_load_b128 v[109:112], v55
	ds_load_b128 v[113:116], v54
	;; [unrolled: 1-line block ×4, first 2 shown]
	v_add_f64 v[164:165], v[200:201], v[10:11]
	s_waitcnt lgkmcnt(6)
	v_add_f64 v[168:169], v[80:81], v[60:61]
	v_add_f64 v[172:173], v[219:220], v[26:27]
	;; [unrolled: 1-line block ×7, first 2 shown]
	v_fma_f64 v[24:25], v[184:185], v[44:45], v[217:218]
	v_fma_f64 v[44:45], v[186:187], v[44:45], -v[46:47]
	v_fma_f64 v[46:47], v[180:181], v[40:41], v[225:226]
	v_fma_f64 v[40:41], v[182:183], v[40:41], -v[42:43]
	v_add_f64 v[180:181], v[146:147], v[148:149]
	v_add_f64 v[182:183], v[4:5], v[0:1]
	s_waitcnt lgkmcnt(5)
	v_add_f64 v[184:185], v[103:104], v[4:5]
	v_add_f64 v[186:187], v[101:102], v[146:147]
	;; [unrolled: 1-line block ×3, first 2 shown]
	s_waitcnt lgkmcnt(4)
	v_add_f64 v[60:61], v[107:108], v[12:13]
	v_add_f64 v[198:199], v[223:224], -v[30:31]
	v_fma_f64 v[42:43], v[188:189], v[48:49], v[227:228]
	v_fma_f64 v[48:49], v[190:191], v[48:49], -v[50:51]
	v_fma_f64 v[97:98], v[97:98], v[52:53], v[125:126]
	v_fma_f64 v[50:51], v[99:100], v[52:53], -v[144:145]
	v_add_f64 v[52:53], v[58:59], v[20:21]
	v_add_f64 v[99:100], v[62:63], v[22:23]
	;; [unrolled: 1-line block ×11, first 2 shown]
	v_add_f64 v[62:63], v[62:63], -v[22:23]
	s_waitcnt lgkmcnt(1)
	v_add_f64 v[206:207], v[119:120], v[36:37]
	v_add_f64 v[217:218], v[117:118], v[8:9]
	v_add_f64 v[235:236], v[36:37], -v[28:29]
	v_fma_f64 v[74:75], v[156:157], -0.5, v[74:75]
	v_add_f64 v[58:59], v[58:59], -v[20:21]
	v_add_f64 v[68:69], v[68:69], -v[6:7]
	;; [unrolled: 1-line block ×3, first 2 shown]
	v_add_f64 v[227:228], v[109:110], v[154:155]
	v_fma_f64 v[76:77], v[158:159], -0.5, v[76:77]
	v_add_f64 v[200:201], v[219:220], -v[26:27]
	v_add_f64 v[237:238], v[8:9], -v[38:39]
	v_fma_f64 v[78:79], v[164:165], -0.5, v[78:79]
	v_add_f64 v[36:37], v[115:116], v[44:45]
	v_add_f64 v[231:232], v[24:25], v[46:47]
	;; [unrolled: 1-line block ×4, first 2 shown]
	v_fma_f64 v[14:15], v[172:173], -0.5, v[70:71]
	v_fma_f64 v[164:165], v[174:175], -0.5, v[72:73]
	v_add_f64 v[194:195], v[105:106], v[150:151]
	v_fma_f64 v[80:81], v[166:167], -0.5, v[80:81]
	v_add_f64 v[219:220], v[4:5], -v[0:1]
	v_add_f64 v[146:147], v[146:147], -v[148:149]
	v_add_f64 v[4:5], v[160:161], v[6:7]
	s_waitcnt lgkmcnt(0)
	v_add_f64 v[160:161], v[121:122], v[42:43]
	v_fma_f64 v[101:102], v[180:181], -0.5, v[101:102]
	v_add_f64 v[156:157], v[48:49], v[50:51]
	v_fma_f64 v[52:53], v[52:53], -0.5, v[16:17]
	v_fma_f64 v[99:100], v[99:100], -0.5, v[18:19]
	v_add_f64 v[18:19], v[125:126], v[22:23]
	v_add_f64 v[16:17], v[144:145], v[20:21]
	;; [unrolled: 1-line block ×4, first 2 shown]
	v_fma_f64 v[103:104], v[182:183], -0.5, v[103:104]
	v_add_f64 v[229:230], v[12:13], -v[152:153]
	v_add_f64 v[150:151], v[150:151], -v[64:65]
	v_add_f64 v[22:23], v[184:185], v[0:1]
	v_add_f64 v[20:21], v[186:187], v[148:149]
	v_fma_f64 v[0:1], v[188:189], -0.5, v[105:106]
	v_fma_f64 v[148:149], v[190:191], -0.5, v[107:108]
	;; [unrolled: 1-line block ×4, first 2 shown]
	v_add_f64 v[225:226], v[111:112], v[32:33]
	v_add_f64 v[239:240], v[32:33], -v[34:35]
	v_add_f64 v[154:155], v[154:155], -v[56:57]
	v_add_f64 v[6:7], v[170:171], v[10:11]
	v_add_f64 v[10:11], v[178:179], v[26:27]
	;; [unrolled: 1-line block ×3, first 2 shown]
	v_fma_f64 v[152:153], v[221:222], -0.5, v[109:110]
	v_fma_f64 v[166:167], v[223:224], -0.5, v[111:112]
	v_add_f64 v[2:3], v[162:163], v[2:3]
	v_add_f64 v[162:163], v[44:45], -v[40:41]
	v_add_f64 v[241:242], v[24:25], -v[46:47]
	v_fma_f64 v[168:169], v[231:232], -0.5, v[113:114]
	v_fma_f64 v[170:171], v[233:234], -0.5, v[115:116]
	v_add_f64 v[243:244], v[48:49], -v[50:51]
	v_add_f64 v[245:246], v[42:43], -v[97:98]
	v_add_f64 v[12:13], v[176:177], v[30:31]
	v_add_f64 v[30:31], v[206:207], v[28:29]
	;; [unrolled: 1-line block ×6, first 2 shown]
	v_fma_f64 v[56:57], v[68:69], s[4:5], v[74:75]
	v_fma_f64 v[60:61], v[68:69], s[10:11], v[74:75]
	v_fma_f64 v[40:41], v[62:63], s[4:5], v[52:53]
	v_fma_f64 v[44:45], v[62:63], s[10:11], v[52:53]
	v_fma_f64 v[52:53], v[156:157], -0.5, v[123:124]
	v_fma_f64 v[42:43], v[58:59], s[10:11], v[99:100]
	v_add_f64 v[36:37], v[125:126], v[46:47]
	v_fma_f64 v[125:126], v[144:145], -0.5, v[121:122]
	v_fma_f64 v[46:47], v[58:59], s[4:5], v[99:100]
	v_fma_f64 v[58:59], v[66:67], s[10:11], v[76:77]
	;; [unrolled: 1-line block ×5, first 2 shown]
	v_add_f64 v[24:25], v[194:195], v[64:65]
	v_fma_f64 v[64:65], v[192:193], s[4:5], v[78:79]
	v_fma_f64 v[68:69], v[192:193], s[10:11], v[78:79]
	;; [unrolled: 1-line block ×6, first 2 shown]
	v_add_f64 v[48:49], v[160:161], v[97:98]
	v_fma_f64 v[97:98], v[219:220], s[4:5], v[101:102]
	v_fma_f64 v[99:100], v[146:147], s[10:11], v[103:104]
	v_fma_f64 v[105:106], v[229:230], s[4:5], v[0:1]
	v_fma_f64 v[107:108], v[150:151], s[10:11], v[148:149]
	v_fma_f64 v[113:114], v[235:236], s[4:5], v[117:118]
	v_fma_f64 v[115:116], v[237:238], s[10:11], v[119:120]
	v_fma_f64 v[101:102], v[219:220], s[10:11], v[101:102]
	v_fma_f64 v[103:104], v[146:147], s[4:5], v[103:104]
	v_fma_f64 v[117:118], v[235:236], s[10:11], v[117:118]
	v_fma_f64 v[119:120], v[237:238], s[4:5], v[119:120]
	v_fma_f64 v[109:110], v[229:230], s[10:11], v[0:1]
	v_fma_f64 v[111:112], v[150:151], s[4:5], v[148:149]
	v_add_f64 v[34:35], v[225:226], v[34:35]
	v_fma_f64 v[121:122], v[239:240], s[4:5], v[152:153]
	v_fma_f64 v[123:124], v[154:155], s[10:11], v[166:167]
	;; [unrolled: 1-line block ×6, first 2 shown]
	s_barrier
	buffer_gl0_inv
	v_fma_f64 v[152:153], v[162:163], s[10:11], v[168:169]
	v_fma_f64 v[154:155], v[241:242], s[4:5], v[170:171]
	ds_store_b128 v208, v[16:19]
	ds_store_b128 v208, v[40:43] offset:4800
	ds_store_b128 v208, v[44:47] offset:9600
	v_fma_f64 v[14:15], v[243:244], s[4:5], v[125:126]
	v_fma_f64 v[16:17], v[245:246], s[10:11], v[52:53]
	v_add_f64 v[50:51], v[158:159], v[50:51]
	v_fma_f64 v[40:41], v[243:244], s[10:11], v[125:126]
	v_fma_f64 v[42:43], v[245:246], s[4:5], v[52:53]
	v_cndmask_b32_e64 v0, 0, 0x3840, s0
	ds_store_b128 v216, v[2:5]
	ds_store_b128 v216, v[56:59] offset:4800
	v_mul_u32_u24_e32 v1, 0x3840, v82
	v_lshlrev_b32_e32 v2, 4, v93
	ds_store_b128 v216, v[60:63] offset:9600
	ds_store_b128 v215, v[6:9]
	ds_store_b128 v215, v[64:67] offset:4800
	ds_store_b128 v215, v[68:71] offset:9600
	v_add3_u32 v0, 0, v0, v92
	ds_store_b128 v0, v[10:13]
	ds_store_b128 v0, v[72:75] offset:4800
	ds_store_b128 v0, v[76:79] offset:9600
	;; [unrolled: 1-line block ×4, first 2 shown]
	v_add3_u32 v0, 0, v1, v2
	v_lshl_add_u32 v1, v94, 4, 0
	ds_store_b128 v208, v[97:100] offset:20160
	ds_store_b128 v208, v[105:108] offset:21600
	;; [unrolled: 1-line block ×4, first 2 shown]
	ds_store_b128 v0, v[28:31]
	ds_store_b128 v0, v[113:116] offset:4800
	ds_store_b128 v0, v[117:120] offset:9600
	v_lshl_add_u32 v0, v96, 4, 0
	v_lshl_add_u32 v2, v95, 4, 0
	ds_store_b128 v1, v[121:124] offset:33600
	ds_store_b128 v1, v[144:147] offset:38400
	;; [unrolled: 1-line block ×7, first 2 shown]
	v_add_co_u32 v0, s0, 0x3000, v86
	s_delay_alu instid0(VALU_DEP_1) | instskip(SKIP_3) | instid1(VALU_DEP_1)
	v_add_co_ci_u32_e64 v1, s0, 0, v87, s0
	ds_store_b128 v2, v[14:17] offset:33600
	ds_store_b128 v2, v[40:43] offset:38400
	v_add_co_u32 v2, s0, 0x3810, v86
	v_add_co_ci_u32_e64 v3, s0, 0, v87, s0
	v_add_co_u32 v4, s0, 0x3000, v88
	s_delay_alu instid0(VALU_DEP_1) | instskip(SKIP_2) | instid1(VALU_DEP_1)
	v_add_co_ci_u32_e64 v5, s0, 0, v89, s0
	v_lshlrev_b32_e32 v82, 1, v142
	v_add_co_u32 v6, s0, 0x3810, v88
	v_add_co_ci_u32_e64 v7, s0, 0, v89, s0
	s_waitcnt lgkmcnt(0)
	s_barrier
	buffer_gl0_inv
	s_clause 0x3
	global_load_b128 v[36:39], v[0:1], off offset:2064
	global_load_b128 v[32:35], v[2:3], off offset:16
	;; [unrolled: 1-line block ×4, first 2 shown]
	v_lshlrev_b64 v[0:1], 4, v[82:83]
	v_add_co_u32 v2, s0, 0x3000, v90
	s_delay_alu instid0(VALU_DEP_1) | instskip(SKIP_1) | instid1(VALU_DEP_4)
	v_add_co_ci_u32_e64 v3, s0, 0, v91, s0
	v_lshlrev_b32_e32 v82, 1, v141
	v_add_co_u32 v6, s0, s8, v0
	s_delay_alu instid0(VALU_DEP_1) | instskip(SKIP_1) | instid1(VALU_DEP_1)
	v_add_co_ci_u32_e64 v7, s0, s9, v1, s0
	v_add_co_u32 v0, s0, 0x3810, v90
	v_add_co_ci_u32_e64 v1, s0, 0, v91, s0
	s_delay_alu instid0(VALU_DEP_4)
	v_add_co_u32 v4, s0, 0x3000, v6
	v_lshlrev_b64 v[12:13], 4, v[82:83]
	v_add_co_ci_u32_e64 v5, s0, 0, v7, s0
	v_add_co_u32 v6, s0, 0x3810, v6
	v_lshlrev_b32_e32 v82, 1, v140
	v_add_co_ci_u32_e64 v7, s0, 0, v7, s0
	s_clause 0x3
	global_load_b128 v[56:59], v[2:3], off offset:2064
	global_load_b128 v[60:63], v[0:1], off offset:16
	;; [unrolled: 1-line block ×4, first 2 shown]
	v_add_co_u32 v4, s0, s8, v12
	s_delay_alu instid0(VALU_DEP_1) | instskip(SKIP_1) | instid1(VALU_DEP_3)
	v_add_co_ci_u32_e64 v5, s0, s9, v13, s0
	v_lshlrev_b64 v[0:1], 4, v[82:83]
	v_add_co_u32 v2, s0, 0x3000, v4
	s_delay_alu instid0(VALU_DEP_1) | instskip(SKIP_1) | instid1(VALU_DEP_4)
	v_add_co_ci_u32_e64 v3, s0, 0, v5, s0
	v_lshlrev_b32_e32 v82, 1, v139
	v_add_co_u32 v6, s0, s8, v0
	s_delay_alu instid0(VALU_DEP_1) | instskip(SKIP_1) | instid1(VALU_DEP_1)
	v_add_co_ci_u32_e64 v7, s0, s9, v1, s0
	v_add_co_u32 v0, s0, 0x3810, v4
	v_add_co_ci_u32_e64 v1, s0, 0, v5, s0
	s_delay_alu instid0(VALU_DEP_4)
	v_add_co_u32 v4, s0, 0x3000, v6
	v_lshlrev_b64 v[14:15], 4, v[82:83]
	v_add_co_ci_u32_e64 v5, s0, 0, v7, s0
	v_add_co_u32 v12, s0, 0x3810, v6
	v_lshlrev_b32_e32 v82, 1, v138
	v_add_co_ci_u32_e64 v13, s0, 0, v7, s0
	v_add_co_u32 v20, s0, s8, v14
	s_clause 0x3
	global_load_b128 v[72:75], v[2:3], off offset:2064
	global_load_b128 v[48:51], v[0:1], off offset:16
	;; [unrolled: 1-line block ×4, first 2 shown]
	v_add_co_ci_u32_e64 v21, s0, s9, v15, s0
	v_lshlrev_b64 v[12:13], 4, v[82:83]
	v_add_co_u32 v14, s0, 0x3000, v20
	s_delay_alu instid0(VALU_DEP_1) | instskip(SKIP_1) | instid1(VALU_DEP_4)
	v_add_co_ci_u32_e64 v15, s0, 0, v21, s0
	v_lshlrev_b32_e32 v82, 1, v137
	v_add_co_u32 v22, s0, s8, v12
	s_delay_alu instid0(VALU_DEP_1) | instskip(SKIP_1) | instid1(VALU_DEP_1)
	v_add_co_ci_u32_e64 v23, s0, s9, v13, s0
	v_add_co_u32 v12, s0, 0x3810, v20
	v_add_co_ci_u32_e64 v13, s0, 0, v21, s0
	s_delay_alu instid0(VALU_DEP_4) | instskip(SKIP_3) | instid1(VALU_DEP_1)
	v_add_co_u32 v20, s0, 0x3000, v22
	v_lshlrev_b64 v[42:43], 4, v[82:83]
	v_add_co_ci_u32_e64 v21, s0, 0, v23, s0
	v_add_co_u32 v40, s0, 0x3810, v22
	v_add_co_ci_u32_e64 v41, s0, 0, v23, s0
	s_delay_alu instid0(VALU_DEP_4)
	v_add_co_u32 v44, s0, s8, v42
	v_lshlrev_b32_e32 v82, 1, v136
	v_add_co_ci_u32_e64 v45, s0, s9, v43, s0
	s_clause 0x3
	global_load_b128 v[28:31], v[14:15], off offset:2064
	global_load_b128 v[24:27], v[12:13], off offset:16
	;; [unrolled: 1-line block ×4, first 2 shown]
	v_add_co_u32 v40, s0, 0x3000, v44
	v_lshlrev_b64 v[42:43], 4, v[82:83]
	v_add_co_ci_u32_e64 v41, s0, 0, v45, s0
	v_add_co_u32 v52, s0, 0x3810, v44
	s_delay_alu instid0(VALU_DEP_1) | instskip(NEXT) | instid1(VALU_DEP_4)
	v_add_co_ci_u32_e64 v53, s0, 0, v45, s0
	v_add_co_u32 v76, s0, s8, v42
	s_delay_alu instid0(VALU_DEP_1) | instskip(SKIP_4) | instid1(VALU_DEP_1)
	v_add_co_ci_u32_e64 v77, s0, s9, v43, s0
	s_clause 0x1
	global_load_b128 v[44:47], v[40:41], off offset:2064
	global_load_b128 v[40:43], v[52:53], off offset:16
	v_add_co_u32 v52, s0, 0x3000, v76
	v_add_co_ci_u32_e64 v53, s0, 0, v77, s0
	v_add_co_u32 v80, s0, 0x3810, v76
	s_delay_alu instid0(VALU_DEP_1)
	v_add_co_ci_u32_e64 v81, s0, 0, v77, s0
	s_clause 0x1
	global_load_b128 v[76:79], v[52:53], off offset:2064
	global_load_b128 v[86:89], v[80:81], off offset:16
	ds_load_b128 v[90:93], v208 offset:14400
	ds_load_b128 v[94:97], v208 offset:28800
	;; [unrolled: 1-line block ×17, first 2 shown]
	ds_load_b128 v[176:179], v211
	ds_load_b128 v[180:183], v208 offset:25920
	ds_load_b128 v[184:187], v208 offset:27360
	;; [unrolled: 1-line block ×3, first 2 shown]
	ds_load_b128 v[192:195], v208
	s_waitcnt vmcnt(19) lgkmcnt(21)
	v_mul_f64 v[52:53], v[92:93], v[38:39]
	v_mul_f64 v[38:39], v[90:91], v[38:39]
	s_waitcnt vmcnt(18) lgkmcnt(20)
	v_mul_f64 v[80:81], v[96:97], v[34:35]
	v_mul_f64 v[34:35], v[94:95], v[34:35]
	;; [unrolled: 3-line block ×4, first 2 shown]
	s_waitcnt vmcnt(15) lgkmcnt(17)
	v_mul_f64 v[198:199], v[108:109], v[58:59]
	s_waitcnt vmcnt(14) lgkmcnt(16)
	v_mul_f64 v[200:201], v[112:113], v[62:63]
	v_mul_f64 v[62:63], v[110:111], v[62:63]
	s_waitcnt vmcnt(13) lgkmcnt(15)
	v_mul_f64 v[202:203], v[116:117], v[66:67]
	v_mul_f64 v[66:67], v[114:115], v[66:67]
	;; [unrolled: 1-line block ×3, first 2 shown]
	s_waitcnt vmcnt(12) lgkmcnt(14)
	v_mul_f64 v[204:205], v[120:121], v[70:71]
	v_fma_f64 v[90:91], v[90:91], v[36:37], v[52:53]
	v_fma_f64 v[38:39], v[92:93], v[36:37], -v[38:39]
	v_mul_f64 v[36:37], v[118:119], v[70:71]
	v_fma_f64 v[80:81], v[94:95], v[32:33], v[80:81]
	v_fma_f64 v[92:93], v[96:97], v[32:33], -v[34:35]
	v_fma_f64 v[18:19], v[100:101], v[16:17], -v[18:19]
	v_fma_f64 v[98:99], v[98:99], v[16:17], v[126:127]
	v_fma_f64 v[104:105], v[104:105], v[8:9], -v[10:11]
	v_fma_f64 v[102:103], v[102:103], v[8:9], v[196:197]
	s_waitcnt vmcnt(11) lgkmcnt(12)
	v_mul_f64 v[52:53], v[146:147], v[74:75]
	v_mul_f64 v[70:71], v[144:145], v[74:75]
	s_waitcnt vmcnt(10)
	v_mul_f64 v[74:75], v[124:125], v[50:51]
	v_mul_f64 v[50:51], v[122:123], v[50:51]
	s_waitcnt vmcnt(9) lgkmcnt(11)
	v_mul_f64 v[94:95], v[150:151], v[6:7]
	v_mul_f64 v[96:97], v[148:149], v[6:7]
	s_waitcnt vmcnt(8) lgkmcnt(10)
	v_mul_f64 v[206:207], v[154:155], v[2:3]
	v_mul_f64 v[100:101], v[152:153], v[2:3]
	v_fma_f64 v[106:107], v[106:107], v[56:57], v[198:199]
	v_fma_f64 v[110:111], v[110:111], v[60:61], v[200:201]
	v_fma_f64 v[60:61], v[112:113], v[60:61], -v[62:63]
	v_fma_f64 v[114:115], v[114:115], v[64:65], v[202:203]
	v_fma_f64 v[64:65], v[116:117], v[64:65], -v[66:67]
	v_fma_f64 v[108:109], v[108:109], v[56:57], -v[58:59]
	s_waitcnt vmcnt(7) lgkmcnt(8)
	v_mul_f64 v[126:127], v[162:163], v[30:31]
	v_mul_f64 v[217:218], v[160:161], v[30:31]
	s_waitcnt vmcnt(6)
	v_mul_f64 v[219:220], v[158:159], v[26:27]
	v_mul_f64 v[10:11], v[156:157], v[26:27]
	s_waitcnt vmcnt(5) lgkmcnt(7)
	v_mul_f64 v[26:27], v[166:167], v[22:23]
	v_mul_f64 v[22:23], v[164:165], v[22:23]
	s_waitcnt vmcnt(4) lgkmcnt(6)
	v_mul_f64 v[196:197], v[170:171], v[14:15]
	v_mul_f64 v[198:199], v[168:169], v[14:15]
	v_fma_f64 v[116:117], v[144:145], v[72:73], v[52:53]
	v_fma_f64 v[70:71], v[146:147], v[72:73], -v[70:71]
	v_fma_f64 v[72:73], v[122:123], v[48:49], v[74:75]
	v_fma_f64 v[74:75], v[124:125], v[48:49], -v[50:51]
	;; [unrolled: 2-line block ×3, first 2 shown]
	ds_load_b128 v[6:9], v216
	ds_load_b128 v[14:17], v215
	v_add_f64 v[144:145], v[18:19], v[104:105]
	s_waitcnt vmcnt(3) lgkmcnt(5)
	v_mul_f64 v[221:222], v[182:183], v[46:47]
	v_mul_f64 v[223:224], v[180:181], v[46:47]
	s_waitcnt vmcnt(2)
	v_mul_f64 v[225:226], v[174:175], v[42:43]
	v_mul_f64 v[42:43], v[172:173], v[42:43]
	v_add_f64 v[150:151], v[106:107], v[110:111]
	s_waitcnt vmcnt(1) lgkmcnt(4)
	v_mul_f64 v[62:63], v[186:187], v[78:79]
	v_mul_f64 v[78:79], v[184:185], v[78:79]
	s_waitcnt vmcnt(0) lgkmcnt(3)
	v_mul_f64 v[112:113], v[190:191], v[88:89]
	v_mul_f64 v[66:67], v[188:189], v[88:89]
	v_fma_f64 v[88:89], v[118:119], v[68:69], v[204:205]
	v_fma_f64 v[68:69], v[120:121], v[68:69], -v[36:37]
	v_fma_f64 v[118:119], v[152:153], v[0:1], v[206:207]
	v_fma_f64 v[0:1], v[154:155], v[0:1], -v[100:101]
	ds_load_b128 v[30:33], v85
	ds_load_b128 v[34:37], v84
	ds_load_b128 v[46:49], v214
	ds_load_b128 v[50:53], v213
	ds_load_b128 v[2:5], v55
	ds_load_b128 v[56:59], v54
	v_fma_f64 v[100:101], v[160:161], v[28:29], v[126:127]
	v_fma_f64 v[28:29], v[162:163], v[28:29], -v[217:218]
	v_fma_f64 v[120:121], v[156:157], v[24:25], v[219:220]
	v_fma_f64 v[122:123], v[158:159], v[24:25], -v[10:11]
	;; [unrolled: 2-line block ×4, first 2 shown]
	v_add_f64 v[152:153], v[108:109], v[60:61]
	s_waitcnt lgkmcnt(7)
	v_add_f64 v[146:147], v[8:9], v[18:19]
	v_add_f64 v[148:149], v[6:7], v[98:99]
	s_waitcnt lgkmcnt(6)
	v_add_f64 v[156:157], v[14:15], v[106:107]
	v_add_f64 v[164:165], v[176:177], v[114:115]
	v_add_f64 v[166:167], v[38:39], -v[92:93]
	v_add_f64 v[170:171], v[70:71], v[74:75]
	v_add_f64 v[162:163], v[178:179], v[64:65]
	v_fma_f64 v[12:13], v[180:181], v[44:45], v[221:222]
	v_fma_f64 v[22:23], v[182:183], v[44:45], -v[223:224]
	v_fma_f64 v[44:45], v[172:173], v[40:41], v[225:226]
	v_fma_f64 v[40:41], v[174:175], v[40:41], -v[42:43]
	s_waitcnt lgkmcnt(5)
	v_add_f64 v[172:173], v[32:33], v[70:71]
	v_add_f64 v[202:203], v[70:71], -v[74:75]
	v_add_f64 v[168:169], v[18:19], -v[104:105]
	v_add_f64 v[154:155], v[16:17], v[108:109]
	v_add_f64 v[108:109], v[108:109], -v[60:61]
	v_add_f64 v[106:107], v[106:107], -v[110:111]
	v_add_f64 v[174:175], v[30:31], v[116:117]
	v_fma_f64 v[24:25], v[184:185], v[76:77], v[62:63]
	v_fma_f64 v[26:27], v[186:187], v[76:77], -v[78:79]
	v_fma_f64 v[42:43], v[188:189], v[86:87], v[112:113]
	v_fma_f64 v[62:63], v[190:191], v[86:87], -v[66:67]
	v_add_f64 v[66:67], v[90:91], v[80:81]
	v_add_f64 v[76:77], v[38:39], v[92:93]
	;; [unrolled: 1-line block ×10, first 2 shown]
	s_waitcnt lgkmcnt(4)
	v_add_f64 v[186:187], v[34:35], v[94:95]
	v_add_f64 v[188:189], v[100:101], v[120:121]
	;; [unrolled: 1-line block ×3, first 2 shown]
	s_waitcnt lgkmcnt(3)
	v_add_f64 v[198:199], v[46:47], v[100:101]
	v_add_f64 v[200:201], v[64:65], -v[68:69]
	v_add_f64 v[64:65], v[10:11], v[124:125]
	v_add_f64 v[70:71], v[20:21], v[126:127]
	;; [unrolled: 1-line block ×4, first 2 shown]
	v_add_f64 v[217:218], v[100:101], -v[120:121]
	s_waitcnt lgkmcnt(1)
	v_add_f64 v[100:101], v[2:3], v[10:11]
	v_add_f64 v[204:205], v[94:95], -v[118:119]
	v_add_f64 v[94:95], v[4:5], v[20:21]
	v_add_f64 v[90:91], v[90:91], -v[80:81]
	s_waitcnt lgkmcnt(0)
	v_add_f64 v[225:226], v[56:57], v[12:13]
	v_add_f64 v[219:220], v[12:13], v[44:45]
	;; [unrolled: 1-line block ×3, first 2 shown]
	v_add_f64 v[98:99], v[98:99], -v[102:103]
	v_add_f64 v[233:234], v[10:11], -v[124:125]
	;; [unrolled: 1-line block ×3, first 2 shown]
	v_add_f64 v[223:224], v[58:59], v[22:23]
	v_add_f64 v[114:115], v[114:115], -v[88:89]
	v_add_f64 v[116:117], v[116:117], -v[72:73]
	v_add_f64 v[18:19], v[164:165], v[88:89]
	v_add_f64 v[96:97], v[96:97], -v[0:1]
	v_add_f64 v[231:232], v[52:53], v[26:27]
	v_add_f64 v[227:228], v[24:25], v[42:43]
	v_add_f64 v[229:230], v[26:27], v[62:63]
	v_fma_f64 v[66:67], v[66:67], -0.5, v[192:193]
	v_fma_f64 v[76:77], v[76:77], -0.5, v[194:195]
	v_add_f64 v[192:193], v[50:51], v[24:25]
	v_add_f64 v[12:13], v[78:79], v[92:93]
	;; [unrolled: 1-line block ×3, first 2 shown]
	v_fma_f64 v[78:79], v[112:113], -0.5, v[6:7]
	v_fma_f64 v[80:81], v[144:145], -0.5, v[8:9]
	;; [unrolled: 1-line block ×4, first 2 shown]
	v_add_f64 v[8:9], v[146:147], v[104:105]
	v_add_f64 v[6:7], v[148:149], v[102:103]
	v_fma_f64 v[102:103], v[158:159], -0.5, v[176:177]
	v_fma_f64 v[104:105], v[160:161], -0.5, v[178:179]
	v_add_f64 v[14:15], v[156:157], v[110:111]
	v_fma_f64 v[88:89], v[38:39], -0.5, v[30:31]
	v_fma_f64 v[110:111], v[170:171], -0.5, v[32:33]
	v_fma_f64 v[112:113], v[180:181], -0.5, v[34:35]
	v_fma_f64 v[144:145], v[182:183], -0.5, v[36:37]
	v_add_f64 v[206:207], v[28:29], -v[122:123]
	v_add_f64 v[239:240], v[26:27], -v[62:63]
	v_add_f64 v[26:27], v[186:187], v[118:119]
	v_fma_f64 v[118:119], v[188:189], -0.5, v[46:47]
	v_fma_f64 v[146:147], v[190:191], -0.5, v[48:49]
	v_add_f64 v[194:195], v[20:21], -v[126:127]
	v_add_f64 v[30:31], v[198:199], v[120:121]
	v_fma_f64 v[120:121], v[64:65], -0.5, v[2:3]
	v_fma_f64 v[4:5], v[70:71], -0.5, v[4:5]
	v_add_f64 v[235:236], v[22:23], -v[40:41]
	v_add_f64 v[28:29], v[184:185], v[0:1]
	v_add_f64 v[32:33], v[196:197], v[122:123]
	;; [unrolled: 1-line block ×3, first 2 shown]
	v_fma_f64 v[122:123], v[219:220], -0.5, v[56:57]
	v_fma_f64 v[124:125], v[221:222], -0.5, v[58:59]
	v_add_f64 v[241:242], v[24:25], -v[42:43]
	v_add_f64 v[2:3], v[94:95], v[126:127]
	v_add_f64 v[34:35], v[225:226], v[44:45]
	v_fma_f64 v[126:127], v[227:228], -0.5, v[50:51]
	v_fma_f64 v[148:149], v[229:230], -0.5, v[52:53]
	v_fma_f64 v[46:47], v[166:167], s[10:11], v[66:67]
	v_fma_f64 v[44:45], v[90:91], s[10:11], v[76:77]
	v_add_f64 v[38:39], v[192:193], v[42:43]
	v_fma_f64 v[42:43], v[166:167], s[4:5], v[66:67]
	v_fma_f64 v[48:49], v[90:91], s[4:5], v[76:77]
	;; [unrolled: 1-line block ×6, first 2 shown]
	v_add_f64 v[16:17], v[154:155], v[60:61]
	v_add_f64 v[36:37], v[223:224], v[40:41]
	;; [unrolled: 1-line block ×3, first 2 shown]
	v_fma_f64 v[60:61], v[108:109], s[4:5], v[86:87]
	v_fma_f64 v[62:63], v[106:107], s[10:11], v[92:93]
	;; [unrolled: 1-line block ×4, first 2 shown]
	v_add_f64 v[20:21], v[162:163], v[68:69]
	v_fma_f64 v[68:69], v[200:201], s[4:5], v[102:103]
	v_fma_f64 v[70:71], v[114:115], s[10:11], v[104:105]
	v_add_f64 v[24:25], v[172:173], v[74:75]
	v_add_f64 v[22:23], v[174:175], v[72:73]
	v_fma_f64 v[72:73], v[200:201], s[10:11], v[102:103]
	v_fma_f64 v[74:75], v[114:115], s[4:5], v[104:105]
	;; [unrolled: 1-line block ×26, first 2 shown]
	s_barrier
	buffer_gl0_inv
	ds_store_b128 v208, v[10:13]
	ds_store_b128 v208, v[42:45] offset:14400
	ds_store_b128 v208, v[46:49] offset:28800
	ds_store_b128 v216, v[6:9]
	ds_store_b128 v216, v[50:53] offset:14400
	ds_store_b128 v216, v[56:59] offset:28800
	;; [unrolled: 3-line block ×10, first 2 shown]
	s_waitcnt lgkmcnt(0)
	s_barrier
	buffer_gl0_inv
	ds_load_b128 v[4:7], v208
	v_sub_nc_u32_e32 v10, 0, v129
	s_addc_u32 s4, s9, 0
	s_mov_b32 s5, exec_lo
                                        ; implicit-def: $vgpr2_vgpr3
                                        ; implicit-def: $vgpr8_vgpr9
	v_cmpx_ne_u32_e32 0, v128
	s_xor_b32 s5, exec_lo, s5
	s_cbranch_execz .LBB0_15
; %bb.14:
	v_mov_b32_e32 v129, v83
	s_delay_alu instid0(VALU_DEP_1) | instskip(NEXT) | instid1(VALU_DEP_1)
	v_lshlrev_b64 v[0:1], 4, v[128:129]
	v_add_co_u32 v0, s0, s1, v0
	s_delay_alu instid0(VALU_DEP_1)
	v_add_co_ci_u32_e64 v1, s0, s4, v1, s0
	global_load_b128 v[11:14], v[0:1], off
	ds_load_b128 v[0:3], v10 offset:43200
	s_waitcnt lgkmcnt(0)
	v_add_f64 v[8:9], v[4:5], -v[0:1]
	v_add_f64 v[15:16], v[6:7], v[2:3]
	v_add_f64 v[2:3], v[6:7], -v[2:3]
	v_add_f64 v[0:1], v[4:5], v[0:1]
	s_delay_alu instid0(VALU_DEP_4) | instskip(NEXT) | instid1(VALU_DEP_4)
	v_mul_f64 v[6:7], v[8:9], 0.5
	v_mul_f64 v[4:5], v[15:16], 0.5
	s_delay_alu instid0(VALU_DEP_4) | instskip(SKIP_1) | instid1(VALU_DEP_3)
	v_mul_f64 v[2:3], v[2:3], 0.5
	s_waitcnt vmcnt(0)
	v_mul_f64 v[8:9], v[6:7], v[13:14]
	s_delay_alu instid0(VALU_DEP_2) | instskip(SKIP_1) | instid1(VALU_DEP_3)
	v_fma_f64 v[15:16], v[4:5], v[13:14], v[2:3]
	v_fma_f64 v[2:3], v[4:5], v[13:14], -v[2:3]
	v_fma_f64 v[17:18], v[0:1], 0.5, v[8:9]
	v_fma_f64 v[0:1], v[0:1], 0.5, -v[8:9]
	s_delay_alu instid0(VALU_DEP_4) | instskip(NEXT) | instid1(VALU_DEP_4)
	v_fma_f64 v[8:9], -v[11:12], v[6:7], v[15:16]
	v_fma_f64 v[2:3], -v[11:12], v[6:7], v[2:3]
	s_delay_alu instid0(VALU_DEP_4) | instskip(NEXT) | instid1(VALU_DEP_4)
	v_fma_f64 v[13:14], v[4:5], v[11:12], v[17:18]
	v_fma_f64 v[0:1], -v[4:5], v[11:12], v[0:1]
                                        ; implicit-def: $vgpr4_vgpr5
	ds_store_b64 v208, v[13:14]
.LBB0_15:
	s_or_saveexec_b32 s0, s5
	v_sub_nc_u32_e32 v12, 0, v133
	v_sub_nc_u32_e32 v11, 0, v212
	s_xor_b32 exec_lo, exec_lo, s0
	s_cbranch_execz .LBB0_17
; %bb.16:
	s_waitcnt lgkmcnt(0)
	v_add_f64 v[13:14], v[4:5], v[6:7]
	v_add_f64 v[0:1], v[4:5], -v[6:7]
	v_mov_b32_e32 v6, 0
	v_mov_b32_e32 v8, 0
	;; [unrolled: 1-line block ×3, first 2 shown]
	s_delay_alu instid0(VALU_DEP_2)
	v_mov_b32_e32 v2, v8
	ds_load_b64 v[4:5], v6 offset:21608
	v_mov_b32_e32 v3, v9
	s_waitcnt lgkmcnt(0)
	v_xor_b32_e32 v5, 0x80000000, v5
	ds_store_b64 v208, v[13:14]
	ds_store_b64 v6, v[4:5] offset:21608
.LBB0_17:
	s_or_b32 exec_lo, exec_lo, s0
	v_mov_b32_e32 v133, 0
	v_add_nc_u32_e32 v11, v209, v11
	v_add_nc_u32_e32 v25, v210, v12
	s_waitcnt lgkmcnt(0)
	s_delay_alu instid0(VALU_DEP_3) | instskip(SKIP_2) | instid1(VALU_DEP_3)
	v_lshlrev_b64 v[4:5], 4, v[132:133]
	v_add_nc_u32_e32 v132, 0x384, v128
	v_mov_b32_e32 v144, v133
	v_add_co_u32 v4, s0, s1, v4
	s_delay_alu instid0(VALU_DEP_1) | instskip(NEXT) | instid1(VALU_DEP_3)
	v_add_co_ci_u32_e64 v5, s0, s4, v5, s0
	v_lshlrev_b64 v[13:14], 4, v[143:144]
	v_mov_b32_e32 v143, v133
	global_load_b128 v[4:7], v[4:5], off
	v_add_co_u32 v13, s0, s1, v13
	s_delay_alu instid0(VALU_DEP_1)
	v_add_co_ci_u32_e64 v14, s0, s4, v14, s0
	global_load_b128 v[13:16], v[13:14], off
	ds_store_b64 v208, v[8:9] offset:8
	ds_store_b128 v10, v[0:3] offset:43200
	ds_load_b128 v[0:3], v216
	ds_load_b128 v[17:20], v10 offset:41760
	s_waitcnt lgkmcnt(0)
	v_add_f64 v[8:9], v[0:1], -v[17:18]
	v_add_f64 v[21:22], v[2:3], v[19:20]
	v_add_f64 v[2:3], v[2:3], -v[19:20]
	v_add_f64 v[0:1], v[0:1], v[17:18]
	s_delay_alu instid0(VALU_DEP_4) | instskip(NEXT) | instid1(VALU_DEP_4)
	v_mul_f64 v[8:9], v[8:9], 0.5
	v_mul_f64 v[19:20], v[21:22], 0.5
	s_delay_alu instid0(VALU_DEP_4) | instskip(SKIP_1) | instid1(VALU_DEP_3)
	v_mul_f64 v[2:3], v[2:3], 0.5
	s_waitcnt vmcnt(1)
	v_mul_f64 v[17:18], v[8:9], v[6:7]
	s_delay_alu instid0(VALU_DEP_2) | instskip(SKIP_1) | instid1(VALU_DEP_3)
	v_fma_f64 v[21:22], v[19:20], v[6:7], v[2:3]
	v_fma_f64 v[6:7], v[19:20], v[6:7], -v[2:3]
	v_fma_f64 v[23:24], v[0:1], 0.5, v[17:18]
	v_fma_f64 v[17:18], v[0:1], 0.5, -v[17:18]
	s_delay_alu instid0(VALU_DEP_4) | instskip(NEXT) | instid1(VALU_DEP_4)
	v_fma_f64 v[2:3], -v[4:5], v[8:9], v[21:22]
	v_fma_f64 v[6:7], -v[4:5], v[8:9], v[6:7]
	v_lshlrev_b64 v[8:9], 4, v[142:143]
	v_mov_b32_e32 v142, v133
	s_delay_alu instid0(VALU_DEP_2) | instskip(NEXT) | instid1(VALU_DEP_1)
	v_add_co_u32 v8, s0, s1, v8
	v_add_co_ci_u32_e64 v9, s0, s4, v9, s0
	v_fma_f64 v[0:1], v[19:20], v[4:5], v[23:24]
	v_fma_f64 v[4:5], -v[19:20], v[4:5], v[17:18]
	global_load_b128 v[17:20], v[8:9], off
	ds_store_b128 v216, v[0:3]
	ds_store_b128 v10, v[4:7] offset:41760
	ds_load_b128 v[0:3], v215
	ds_load_b128 v[4:7], v10 offset:40320
	s_waitcnt lgkmcnt(0)
	v_add_f64 v[8:9], v[0:1], -v[4:5]
	v_add_f64 v[21:22], v[2:3], v[6:7]
	v_add_f64 v[2:3], v[2:3], -v[6:7]
	v_add_f64 v[0:1], v[0:1], v[4:5]
	s_delay_alu instid0(VALU_DEP_4) | instskip(NEXT) | instid1(VALU_DEP_4)
	v_mul_f64 v[6:7], v[8:9], 0.5
	v_mul_f64 v[8:9], v[21:22], 0.5
	s_delay_alu instid0(VALU_DEP_4) | instskip(SKIP_1) | instid1(VALU_DEP_3)
	v_mul_f64 v[2:3], v[2:3], 0.5
	s_waitcnt vmcnt(1)
	v_mul_f64 v[4:5], v[6:7], v[15:16]
	s_delay_alu instid0(VALU_DEP_2) | instskip(SKIP_1) | instid1(VALU_DEP_3)
	v_fma_f64 v[21:22], v[8:9], v[15:16], v[2:3]
	v_fma_f64 v[15:16], v[8:9], v[15:16], -v[2:3]
	v_fma_f64 v[23:24], v[0:1], 0.5, v[4:5]
	v_fma_f64 v[4:5], v[0:1], 0.5, -v[4:5]
	s_delay_alu instid0(VALU_DEP_4) | instskip(NEXT) | instid1(VALU_DEP_4)
	v_fma_f64 v[2:3], -v[13:14], v[6:7], v[21:22]
	v_fma_f64 v[6:7], -v[13:14], v[6:7], v[15:16]
	s_delay_alu instid0(VALU_DEP_4) | instskip(NEXT) | instid1(VALU_DEP_4)
	v_fma_f64 v[0:1], v[8:9], v[13:14], v[23:24]
	v_fma_f64 v[4:5], -v[8:9], v[13:14], v[4:5]
	v_lshlrev_b64 v[8:9], 4, v[141:142]
	v_mov_b32_e32 v141, v133
	s_delay_alu instid0(VALU_DEP_2) | instskip(NEXT) | instid1(VALU_DEP_1)
	v_add_co_u32 v8, s0, s1, v8
	v_add_co_ci_u32_e64 v9, s0, s4, v9, s0
	global_load_b128 v[13:16], v[8:9], off
	ds_store_b128 v215, v[0:3]
	ds_store_b128 v10, v[4:7] offset:40320
	ds_load_b128 v[0:3], v211
	ds_load_b128 v[4:7], v10 offset:38880
	s_waitcnt lgkmcnt(0)
	v_add_f64 v[8:9], v[0:1], -v[4:5]
	v_add_f64 v[21:22], v[2:3], v[6:7]
	v_add_f64 v[2:3], v[2:3], -v[6:7]
	v_add_f64 v[0:1], v[0:1], v[4:5]
	s_delay_alu instid0(VALU_DEP_4) | instskip(NEXT) | instid1(VALU_DEP_4)
	v_mul_f64 v[6:7], v[8:9], 0.5
	v_mul_f64 v[8:9], v[21:22], 0.5
	s_delay_alu instid0(VALU_DEP_4) | instskip(SKIP_1) | instid1(VALU_DEP_3)
	v_mul_f64 v[2:3], v[2:3], 0.5
	s_waitcnt vmcnt(1)
	v_mul_f64 v[4:5], v[6:7], v[19:20]
	s_delay_alu instid0(VALU_DEP_2) | instskip(SKIP_1) | instid1(VALU_DEP_3)
	v_fma_f64 v[21:22], v[8:9], v[19:20], v[2:3]
	v_fma_f64 v[19:20], v[8:9], v[19:20], -v[2:3]
	v_fma_f64 v[23:24], v[0:1], 0.5, v[4:5]
	v_fma_f64 v[4:5], v[0:1], 0.5, -v[4:5]
	s_delay_alu instid0(VALU_DEP_4) | instskip(NEXT) | instid1(VALU_DEP_4)
	v_fma_f64 v[2:3], -v[17:18], v[6:7], v[21:22]
	v_fma_f64 v[6:7], -v[17:18], v[6:7], v[19:20]
	s_delay_alu instid0(VALU_DEP_4) | instskip(NEXT) | instid1(VALU_DEP_4)
	v_fma_f64 v[0:1], v[8:9], v[17:18], v[23:24]
	v_fma_f64 v[4:5], -v[8:9], v[17:18], v[4:5]
	v_lshlrev_b64 v[8:9], 4, v[140:141]
	v_mov_b32_e32 v140, v133
	s_delay_alu instid0(VALU_DEP_2) | instskip(NEXT) | instid1(VALU_DEP_1)
	v_add_co_u32 v8, s0, s1, v8
	v_add_co_ci_u32_e64 v9, s0, s4, v9, s0
	;; [unrolled: 33-line block ×5, first 2 shown]
	global_load_b128 v[12:15], v[8:9], off
	ds_store_b128 v25, v[0:3]
	ds_store_b128 v10, v[4:7] offset:34560
	ds_load_b128 v[0:3], v55
	ds_load_b128 v[4:7], v10 offset:33120
	s_waitcnt lgkmcnt(0)
	v_add_f64 v[8:9], v[0:1], -v[4:5]
	v_add_f64 v[21:22], v[2:3], v[6:7]
	v_add_f64 v[2:3], v[2:3], -v[6:7]
	v_add_f64 v[0:1], v[0:1], v[4:5]
	s_delay_alu instid0(VALU_DEP_4) | instskip(NEXT) | instid1(VALU_DEP_4)
	v_mul_f64 v[6:7], v[8:9], 0.5
	v_mul_f64 v[8:9], v[21:22], 0.5
	s_delay_alu instid0(VALU_DEP_4) | instskip(SKIP_1) | instid1(VALU_DEP_3)
	v_mul_f64 v[2:3], v[2:3], 0.5
	s_waitcnt vmcnt(1)
	v_mul_f64 v[4:5], v[6:7], v[19:20]
	s_delay_alu instid0(VALU_DEP_2) | instskip(SKIP_1) | instid1(VALU_DEP_3)
	v_fma_f64 v[21:22], v[8:9], v[19:20], v[2:3]
	v_fma_f64 v[19:20], v[8:9], v[19:20], -v[2:3]
	v_fma_f64 v[23:24], v[0:1], 0.5, v[4:5]
	v_fma_f64 v[4:5], v[0:1], 0.5, -v[4:5]
	s_delay_alu instid0(VALU_DEP_4) | instskip(NEXT) | instid1(VALU_DEP_4)
	v_fma_f64 v[2:3], -v[17:18], v[6:7], v[21:22]
	v_fma_f64 v[6:7], -v[17:18], v[6:7], v[19:20]
	s_delay_alu instid0(VALU_DEP_4) | instskip(NEXT) | instid1(VALU_DEP_4)
	v_fma_f64 v[0:1], v[8:9], v[17:18], v[23:24]
	v_fma_f64 v[4:5], -v[8:9], v[17:18], v[4:5]
	v_lshlrev_b64 v[8:9], 4, v[136:137]
	s_delay_alu instid0(VALU_DEP_1) | instskip(NEXT) | instid1(VALU_DEP_1)
	v_add_co_u32 v8, s0, s1, v8
	v_add_co_ci_u32_e64 v9, s0, s4, v9, s0
	global_load_b128 v[16:19], v[8:9], off
	ds_store_b128 v55, v[0:3]
	ds_store_b128 v10, v[4:7] offset:33120
	ds_load_b128 v[0:3], v54
	ds_load_b128 v[4:7], v10 offset:31680
	s_waitcnt lgkmcnt(0)
	v_add_f64 v[8:9], v[0:1], -v[4:5]
	v_add_f64 v[20:21], v[2:3], v[6:7]
	v_add_f64 v[2:3], v[2:3], -v[6:7]
	v_add_f64 v[0:1], v[0:1], v[4:5]
	s_delay_alu instid0(VALU_DEP_4) | instskip(NEXT) | instid1(VALU_DEP_4)
	v_mul_f64 v[6:7], v[8:9], 0.5
	v_mul_f64 v[8:9], v[20:21], 0.5
	s_delay_alu instid0(VALU_DEP_4) | instskip(SKIP_1) | instid1(VALU_DEP_3)
	v_mul_f64 v[2:3], v[2:3], 0.5
	s_waitcnt vmcnt(1)
	v_mul_f64 v[4:5], v[6:7], v[14:15]
	s_delay_alu instid0(VALU_DEP_2) | instskip(SKIP_1) | instid1(VALU_DEP_3)
	v_fma_f64 v[20:21], v[8:9], v[14:15], v[2:3]
	v_fma_f64 v[14:15], v[8:9], v[14:15], -v[2:3]
	v_fma_f64 v[22:23], v[0:1], 0.5, v[4:5]
	v_fma_f64 v[4:5], v[0:1], 0.5, -v[4:5]
	s_delay_alu instid0(VALU_DEP_4) | instskip(NEXT) | instid1(VALU_DEP_4)
	v_fma_f64 v[2:3], -v[12:13], v[6:7], v[20:21]
	v_fma_f64 v[6:7], -v[12:13], v[6:7], v[14:15]
	s_delay_alu instid0(VALU_DEP_4) | instskip(NEXT) | instid1(VALU_DEP_4)
	v_fma_f64 v[0:1], v[8:9], v[12:13], v[22:23]
	v_fma_f64 v[4:5], -v[8:9], v[12:13], v[4:5]
	v_lshlrev_b64 v[8:9], 4, v[132:133]
	v_add_nc_u32_e32 v132, 0x3de, v128
	s_delay_alu instid0(VALU_DEP_2) | instskip(NEXT) | instid1(VALU_DEP_1)
	v_add_co_u32 v8, s0, s1, v8
	v_add_co_ci_u32_e64 v9, s0, s4, v9, s0
	global_load_b128 v[12:15], v[8:9], off
	ds_store_b128 v54, v[0:3]
	ds_store_b128 v10, v[4:7] offset:31680
	ds_load_b128 v[0:3], v11
	ds_load_b128 v[4:7], v10 offset:30240
	s_waitcnt lgkmcnt(0)
	v_add_f64 v[8:9], v[0:1], -v[4:5]
	v_add_f64 v[20:21], v[2:3], v[6:7]
	v_add_f64 v[2:3], v[2:3], -v[6:7]
	v_add_f64 v[0:1], v[0:1], v[4:5]
	s_delay_alu instid0(VALU_DEP_4) | instskip(NEXT) | instid1(VALU_DEP_4)
	v_mul_f64 v[6:7], v[8:9], 0.5
	v_mul_f64 v[8:9], v[20:21], 0.5
	s_delay_alu instid0(VALU_DEP_4) | instskip(SKIP_1) | instid1(VALU_DEP_3)
	v_mul_f64 v[2:3], v[2:3], 0.5
	s_waitcnt vmcnt(1)
	v_mul_f64 v[4:5], v[6:7], v[18:19]
	s_delay_alu instid0(VALU_DEP_2) | instskip(SKIP_1) | instid1(VALU_DEP_3)
	v_fma_f64 v[20:21], v[8:9], v[18:19], v[2:3]
	v_fma_f64 v[18:19], v[8:9], v[18:19], -v[2:3]
	v_fma_f64 v[22:23], v[0:1], 0.5, v[4:5]
	v_fma_f64 v[4:5], v[0:1], 0.5, -v[4:5]
	s_delay_alu instid0(VALU_DEP_4) | instskip(NEXT) | instid1(VALU_DEP_4)
	v_fma_f64 v[2:3], -v[16:17], v[6:7], v[20:21]
	v_fma_f64 v[6:7], -v[16:17], v[6:7], v[18:19]
	s_delay_alu instid0(VALU_DEP_4) | instskip(NEXT) | instid1(VALU_DEP_4)
	v_fma_f64 v[0:1], v[8:9], v[16:17], v[22:23]
	v_fma_f64 v[4:5], -v[8:9], v[16:17], v[4:5]
	v_lshlrev_b64 v[8:9], 4, v[132:133]
	v_add_nc_u32_e32 v132, 0x438, v128
	s_delay_alu instid0(VALU_DEP_2) | instskip(NEXT) | instid1(VALU_DEP_1)
	v_add_co_u32 v8, s0, s1, v8
	v_add_co_ci_u32_e64 v9, s0, s4, v9, s0
	global_load_b128 v[16:19], v[8:9], off
	ds_store_b128 v11, v[0:3]
	ds_store_b128 v10, v[4:7] offset:30240
	ds_load_b128 v[0:3], v208 offset:14400
	ds_load_b128 v[4:7], v10 offset:28800
	s_waitcnt lgkmcnt(0)
	v_add_f64 v[8:9], v[0:1], -v[4:5]
	v_add_f64 v[20:21], v[2:3], v[6:7]
	v_add_f64 v[2:3], v[2:3], -v[6:7]
	v_add_f64 v[0:1], v[0:1], v[4:5]
	s_delay_alu instid0(VALU_DEP_4) | instskip(NEXT) | instid1(VALU_DEP_4)
	v_mul_f64 v[6:7], v[8:9], 0.5
	v_mul_f64 v[8:9], v[20:21], 0.5
	s_delay_alu instid0(VALU_DEP_4) | instskip(SKIP_1) | instid1(VALU_DEP_3)
	v_mul_f64 v[2:3], v[2:3], 0.5
	s_waitcnt vmcnt(1)
	v_mul_f64 v[4:5], v[6:7], v[14:15]
	s_delay_alu instid0(VALU_DEP_2) | instskip(SKIP_1) | instid1(VALU_DEP_3)
	v_fma_f64 v[20:21], v[8:9], v[14:15], v[2:3]
	v_fma_f64 v[14:15], v[8:9], v[14:15], -v[2:3]
	v_fma_f64 v[22:23], v[0:1], 0.5, v[4:5]
	v_fma_f64 v[4:5], v[0:1], 0.5, -v[4:5]
	s_delay_alu instid0(VALU_DEP_4) | instskip(NEXT) | instid1(VALU_DEP_4)
	v_fma_f64 v[2:3], -v[12:13], v[6:7], v[20:21]
	v_fma_f64 v[6:7], -v[12:13], v[6:7], v[14:15]
	s_delay_alu instid0(VALU_DEP_4) | instskip(NEXT) | instid1(VALU_DEP_4)
	v_fma_f64 v[0:1], v[8:9], v[12:13], v[22:23]
	v_fma_f64 v[4:5], -v[8:9], v[12:13], v[4:5]
	v_lshlrev_b64 v[8:9], 4, v[132:133]
	v_add_nc_u32_e32 v132, 0x492, v128
	s_delay_alu instid0(VALU_DEP_2) | instskip(NEXT) | instid1(VALU_DEP_1)
	v_add_co_u32 v8, s0, s1, v8
	v_add_co_ci_u32_e64 v9, s0, s4, v9, s0
	global_load_b128 v[11:14], v[8:9], off
	ds_store_b128 v208, v[0:3] offset:14400
	ds_store_b128 v10, v[4:7] offset:28800
	ds_load_b128 v[0:3], v208 offset:15840
	ds_load_b128 v[4:7], v10 offset:27360
	s_waitcnt lgkmcnt(0)
	v_add_f64 v[8:9], v[0:1], -v[4:5]
	v_add_f64 v[20:21], v[2:3], v[6:7]
	v_add_f64 v[2:3], v[2:3], -v[6:7]
	v_add_f64 v[0:1], v[0:1], v[4:5]
	s_delay_alu instid0(VALU_DEP_4) | instskip(NEXT) | instid1(VALU_DEP_4)
	v_mul_f64 v[6:7], v[8:9], 0.5
	v_mul_f64 v[8:9], v[20:21], 0.5
	s_delay_alu instid0(VALU_DEP_4) | instskip(SKIP_1) | instid1(VALU_DEP_3)
	v_mul_f64 v[2:3], v[2:3], 0.5
	s_waitcnt vmcnt(1)
	v_mul_f64 v[4:5], v[6:7], v[18:19]
	s_delay_alu instid0(VALU_DEP_2) | instskip(SKIP_1) | instid1(VALU_DEP_3)
	v_fma_f64 v[20:21], v[8:9], v[18:19], v[2:3]
	v_fma_f64 v[18:19], v[8:9], v[18:19], -v[2:3]
	v_fma_f64 v[22:23], v[0:1], 0.5, v[4:5]
	v_fma_f64 v[4:5], v[0:1], 0.5, -v[4:5]
	s_delay_alu instid0(VALU_DEP_4) | instskip(NEXT) | instid1(VALU_DEP_4)
	v_fma_f64 v[2:3], -v[16:17], v[6:7], v[20:21]
	v_fma_f64 v[6:7], -v[16:17], v[6:7], v[18:19]
	s_delay_alu instid0(VALU_DEP_4) | instskip(NEXT) | instid1(VALU_DEP_4)
	v_fma_f64 v[0:1], v[8:9], v[16:17], v[22:23]
	v_fma_f64 v[4:5], -v[8:9], v[16:17], v[4:5]
	v_lshlrev_b64 v[8:9], 4, v[132:133]
	v_add_nc_u32_e32 v132, 0x4ec, v128
	s_delay_alu instid0(VALU_DEP_2) | instskip(NEXT) | instid1(VALU_DEP_1)
	v_add_co_u32 v8, s0, s1, v8
	v_add_co_ci_u32_e64 v9, s0, s4, v9, s0
	global_load_b128 v[15:18], v[8:9], off
	ds_store_b128 v208, v[0:3] offset:15840
	ds_store_b128 v10, v[4:7] offset:27360
	ds_load_b128 v[0:3], v208 offset:17280
	ds_load_b128 v[4:7], v10 offset:25920
	s_waitcnt lgkmcnt(0)
	v_add_f64 v[8:9], v[0:1], -v[4:5]
	v_add_f64 v[19:20], v[2:3], v[6:7]
	v_add_f64 v[2:3], v[2:3], -v[6:7]
	v_add_f64 v[0:1], v[0:1], v[4:5]
	s_delay_alu instid0(VALU_DEP_4) | instskip(NEXT) | instid1(VALU_DEP_4)
	v_mul_f64 v[6:7], v[8:9], 0.5
	v_mul_f64 v[8:9], v[19:20], 0.5
	s_delay_alu instid0(VALU_DEP_4) | instskip(SKIP_1) | instid1(VALU_DEP_3)
	v_mul_f64 v[2:3], v[2:3], 0.5
	s_waitcnt vmcnt(1)
	v_mul_f64 v[4:5], v[6:7], v[13:14]
	s_delay_alu instid0(VALU_DEP_2) | instskip(SKIP_1) | instid1(VALU_DEP_3)
	v_fma_f64 v[19:20], v[8:9], v[13:14], v[2:3]
	v_fma_f64 v[13:14], v[8:9], v[13:14], -v[2:3]
	v_fma_f64 v[21:22], v[0:1], 0.5, v[4:5]
	v_fma_f64 v[4:5], v[0:1], 0.5, -v[4:5]
	s_delay_alu instid0(VALU_DEP_4) | instskip(NEXT) | instid1(VALU_DEP_4)
	v_fma_f64 v[2:3], -v[11:12], v[6:7], v[19:20]
	v_fma_f64 v[6:7], -v[11:12], v[6:7], v[13:14]
	s_delay_alu instid0(VALU_DEP_4) | instskip(NEXT) | instid1(VALU_DEP_4)
	v_fma_f64 v[0:1], v[8:9], v[11:12], v[21:22]
	v_fma_f64 v[4:5], -v[8:9], v[11:12], v[4:5]
	v_lshlrev_b64 v[8:9], 4, v[132:133]
	s_delay_alu instid0(VALU_DEP_1) | instskip(NEXT) | instid1(VALU_DEP_1)
	v_add_co_u32 v8, s0, s1, v8
	v_add_co_ci_u32_e64 v9, s0, s4, v9, s0
	global_load_b128 v[11:14], v[8:9], off
	ds_store_b128 v208, v[0:3] offset:17280
	ds_store_b128 v10, v[4:7] offset:25920
	ds_load_b128 v[0:3], v208 offset:18720
	ds_load_b128 v[4:7], v10 offset:24480
	s_waitcnt lgkmcnt(0)
	v_add_f64 v[8:9], v[0:1], -v[4:5]
	v_add_f64 v[19:20], v[2:3], v[6:7]
	v_add_f64 v[2:3], v[2:3], -v[6:7]
	v_add_f64 v[0:1], v[0:1], v[4:5]
	s_delay_alu instid0(VALU_DEP_4) | instskip(NEXT) | instid1(VALU_DEP_4)
	v_mul_f64 v[6:7], v[8:9], 0.5
	v_mul_f64 v[8:9], v[19:20], 0.5
	s_delay_alu instid0(VALU_DEP_4) | instskip(SKIP_1) | instid1(VALU_DEP_3)
	v_mul_f64 v[2:3], v[2:3], 0.5
	s_waitcnt vmcnt(1)
	v_mul_f64 v[4:5], v[6:7], v[17:18]
	s_delay_alu instid0(VALU_DEP_2) | instskip(SKIP_1) | instid1(VALU_DEP_3)
	v_fma_f64 v[19:20], v[8:9], v[17:18], v[2:3]
	v_fma_f64 v[17:18], v[8:9], v[17:18], -v[2:3]
	v_fma_f64 v[21:22], v[0:1], 0.5, v[4:5]
	v_fma_f64 v[4:5], v[0:1], 0.5, -v[4:5]
	s_delay_alu instid0(VALU_DEP_4) | instskip(NEXT) | instid1(VALU_DEP_4)
	v_fma_f64 v[2:3], -v[15:16], v[6:7], v[19:20]
	v_fma_f64 v[6:7], -v[15:16], v[6:7], v[17:18]
	s_delay_alu instid0(VALU_DEP_4) | instskip(NEXT) | instid1(VALU_DEP_4)
	v_fma_f64 v[0:1], v[8:9], v[15:16], v[21:22]
	v_fma_f64 v[4:5], -v[8:9], v[15:16], v[4:5]
	ds_store_b128 v208, v[0:3] offset:18720
	ds_store_b128 v10, v[4:7] offset:24480
	ds_load_b128 v[0:3], v208 offset:20160
	ds_load_b128 v[4:7], v10 offset:23040
	s_waitcnt lgkmcnt(0)
	v_add_f64 v[8:9], v[0:1], -v[4:5]
	v_add_f64 v[15:16], v[2:3], v[6:7]
	v_add_f64 v[2:3], v[2:3], -v[6:7]
	v_add_f64 v[0:1], v[0:1], v[4:5]
	s_delay_alu instid0(VALU_DEP_4) | instskip(NEXT) | instid1(VALU_DEP_4)
	v_mul_f64 v[6:7], v[8:9], 0.5
	v_mul_f64 v[8:9], v[15:16], 0.5
	s_delay_alu instid0(VALU_DEP_4) | instskip(SKIP_1) | instid1(VALU_DEP_3)
	v_mul_f64 v[2:3], v[2:3], 0.5
	s_waitcnt vmcnt(0)
	v_mul_f64 v[4:5], v[6:7], v[13:14]
	s_delay_alu instid0(VALU_DEP_2) | instskip(SKIP_1) | instid1(VALU_DEP_3)
	v_fma_f64 v[15:16], v[8:9], v[13:14], v[2:3]
	v_fma_f64 v[13:14], v[8:9], v[13:14], -v[2:3]
	v_fma_f64 v[17:18], v[0:1], 0.5, v[4:5]
	v_fma_f64 v[4:5], v[0:1], 0.5, -v[4:5]
	s_delay_alu instid0(VALU_DEP_4) | instskip(NEXT) | instid1(VALU_DEP_4)
	v_fma_f64 v[2:3], -v[11:12], v[6:7], v[15:16]
	v_fma_f64 v[6:7], -v[11:12], v[6:7], v[13:14]
	s_delay_alu instid0(VALU_DEP_4) | instskip(NEXT) | instid1(VALU_DEP_4)
	v_fma_f64 v[0:1], v[8:9], v[11:12], v[17:18]
	v_fma_f64 v[4:5], -v[8:9], v[11:12], v[4:5]
	ds_store_b128 v208, v[0:3] offset:20160
	ds_store_b128 v10, v[4:7] offset:23040
	s_waitcnt lgkmcnt(0)
	s_barrier
	buffer_gl0_inv
	s_and_saveexec_b32 s0, vcc_lo
	s_cbranch_execz .LBB0_20
; %bb.18:
	v_mul_lo_u32 v2, s3, v134
	v_mul_lo_u32 v3, s2, v135
	v_mad_u64_u32 v[0:1], null, s2, v134, 0
	v_lshl_add_u32 v32, v128, 4, 0
	v_dual_mov_b32 v129, v133 :: v_dual_add_nc_u32 v132, 0x5a, v128
	v_lshlrev_b64 v[10:11], 4, v[130:131]
	ds_load_b128 v[6:9], v32 offset:1440
	v_add3_u32 v1, v1, v3, v2
	ds_load_b128 v[2:5], v32
	v_lshlrev_b64 v[12:13], 4, v[128:129]
	v_lshlrev_b64 v[14:15], 4, v[132:133]
	v_add_nc_u32_e32 v132, 0xb4, v128
	v_lshlrev_b64 v[0:1], 4, v[0:1]
	s_delay_alu instid0(VALU_DEP_2) | instskip(SKIP_1) | instid1(VALU_DEP_3)
	v_lshlrev_b64 v[22:23], 4, v[132:133]
	v_add_nc_u32_e32 v132, 0x10e, v128
	v_add_co_u32 v0, vcc_lo, s6, v0
	s_delay_alu instid0(VALU_DEP_4) | instskip(NEXT) | instid1(VALU_DEP_3)
	v_add_co_ci_u32_e32 v1, vcc_lo, s7, v1, vcc_lo
	v_lshlrev_b64 v[24:25], 4, v[132:133]
	s_delay_alu instid0(VALU_DEP_3) | instskip(NEXT) | instid1(VALU_DEP_3)
	v_add_co_u32 v0, vcc_lo, v0, v10
	v_add_co_ci_u32_e32 v1, vcc_lo, v1, v11, vcc_lo
	v_add_nc_u32_e32 v132, 0x168, v128
	s_delay_alu instid0(VALU_DEP_3) | instskip(NEXT) | instid1(VALU_DEP_3)
	v_add_co_u32 v18, vcc_lo, v0, v12
	v_add_co_ci_u32_e32 v19, vcc_lo, v1, v13, vcc_lo
	v_add_co_u32 v20, vcc_lo, v0, v14
	v_add_co_ci_u32_e32 v21, vcc_lo, v1, v15, vcc_lo
	ds_load_b128 v[10:13], v32 offset:2880
	ds_load_b128 v[14:17], v32 offset:41760
	s_waitcnt lgkmcnt(2)
	s_clause 0x1
	global_store_b128 v[18:19], v[2:5], off
	global_store_b128 v[20:21], v[6:9], off
	ds_load_b128 v[2:5], v32 offset:4320
	ds_load_b128 v[6:9], v32 offset:5760
	;; [unrolled: 1-line block ×3, first 2 shown]
	v_lshlrev_b64 v[26:27], 4, v[132:133]
	v_add_nc_u32_e32 v132, 0x1c2, v128
	v_add_co_u32 v22, vcc_lo, v0, v22
	v_add_co_ci_u32_e32 v23, vcc_lo, v1, v23, vcc_lo
	v_add_co_u32 v24, vcc_lo, v0, v24
	s_delay_alu instid0(VALU_DEP_4)
	v_lshlrev_b64 v[28:29], 4, v[132:133]
	v_add_nc_u32_e32 v132, 0x21c, v128
	v_add_co_ci_u32_e32 v25, vcc_lo, v1, v25, vcc_lo
	v_add_co_u32 v26, vcc_lo, v0, v26
	v_add_co_ci_u32_e32 v27, vcc_lo, v1, v27, vcc_lo
	v_add_co_u32 v28, vcc_lo, v0, v28
	v_lshlrev_b64 v[30:31], 4, v[132:133]
	v_add_nc_u32_e32 v132, 0x276, v128
	v_add_co_ci_u32_e32 v29, vcc_lo, v1, v29, vcc_lo
	s_waitcnt lgkmcnt(4)
	global_store_b128 v[22:23], v[10:13], off
	s_waitcnt lgkmcnt(2)
	global_store_b128 v[24:25], v[2:5], off
	ds_load_b128 v[2:5], v32 offset:8640
	v_lshlrev_b64 v[22:23], 4, v[132:133]
	v_add_nc_u32_e32 v132, 0x2d0, v128
	s_waitcnt lgkmcnt(2)
	global_store_b128 v[26:27], v[6:9], off
	s_waitcnt lgkmcnt(1)
	global_store_b128 v[28:29], v[18:21], off
	ds_load_b128 v[6:9], v32 offset:10080
	ds_load_b128 v[10:13], v32 offset:11520
	ds_load_b128 v[18:21], v32 offset:12960
	v_add_co_u32 v24, vcc_lo, v0, v30
	v_lshlrev_b64 v[26:27], 4, v[132:133]
	v_add_nc_u32_e32 v132, 0x32a, v128
	v_add_co_ci_u32_e32 v25, vcc_lo, v1, v31, vcc_lo
	v_add_co_u32 v22, vcc_lo, v0, v22
	s_delay_alu instid0(VALU_DEP_3)
	v_lshlrev_b64 v[28:29], 4, v[132:133]
	v_add_nc_u32_e32 v132, 0x384, v128
	v_add_co_ci_u32_e32 v23, vcc_lo, v1, v23, vcc_lo
	v_add_co_u32 v26, vcc_lo, v0, v26
	v_add_co_ci_u32_e32 v27, vcc_lo, v1, v27, vcc_lo
	v_add_co_u32 v28, vcc_lo, v0, v28
	v_lshlrev_b64 v[30:31], 4, v[132:133]
	v_add_nc_u32_e32 v132, 0x3de, v128
	v_add_co_ci_u32_e32 v29, vcc_lo, v1, v29, vcc_lo
	s_waitcnt lgkmcnt(3)
	global_store_b128 v[24:25], v[2:5], off
	s_waitcnt lgkmcnt(2)
	global_store_b128 v[22:23], v[6:9], off
	ds_load_b128 v[2:5], v32 offset:14400
	v_lshlrev_b64 v[22:23], 4, v[132:133]
	v_add_nc_u32_e32 v132, 0x438, v128
	s_waitcnt lgkmcnt(2)
	global_store_b128 v[26:27], v[10:13], off
	s_waitcnt lgkmcnt(1)
	global_store_b128 v[28:29], v[18:21], off
	ds_load_b128 v[6:9], v32 offset:15840
	ds_load_b128 v[10:13], v32 offset:17280
	ds_load_b128 v[18:21], v32 offset:18720
	v_add_co_u32 v24, vcc_lo, v0, v30
	v_lshlrev_b64 v[26:27], 4, v[132:133]
	v_add_nc_u32_e32 v132, 0x492, v128
	v_add_co_ci_u32_e32 v25, vcc_lo, v1, v31, vcc_lo
	v_add_co_u32 v22, vcc_lo, v0, v22
	s_delay_alu instid0(VALU_DEP_3)
	;; [unrolled: 29-line block ×5, first 2 shown]
	v_lshlrev_b64 v[28:29], 4, v[132:133]
	v_add_co_ci_u32_e32 v23, vcc_lo, v1, v23, vcc_lo
	v_add_nc_u32_e32 v132, 0x924, v128
	v_add_co_u32 v26, vcc_lo, v0, v26
	v_add_co_ci_u32_e32 v27, vcc_lo, v1, v27, vcc_lo
	v_add_co_u32 v28, vcc_lo, v0, v28
	s_delay_alu instid0(VALU_DEP_4)
	v_lshlrev_b64 v[30:31], 4, v[132:133]
	v_add_nc_u32_e32 v132, 0x97e, v128
	v_add_co_ci_u32_e32 v29, vcc_lo, v1, v29, vcc_lo
	s_waitcnt lgkmcnt(3)
	global_store_b128 v[24:25], v[2:5], off
	s_waitcnt lgkmcnt(2)
	global_store_b128 v[22:23], v[6:9], off
	ds_load_b128 v[2:5], v32 offset:37440
	s_waitcnt lgkmcnt(2)
	global_store_b128 v[26:27], v[10:13], off
	s_waitcnt lgkmcnt(1)
	global_store_b128 v[28:29], v[18:21], off
	v_lshlrev_b64 v[18:19], 4, v[132:133]
	v_add_nc_u32_e32 v132, 0x9d8, v128
	ds_load_b128 v[6:9], v32 offset:38880
	ds_load_b128 v[10:13], v32 offset:40320
	v_add_co_u32 v20, vcc_lo, v0, v30
	v_add_co_ci_u32_e32 v21, vcc_lo, v1, v31, vcc_lo
	v_lshlrev_b64 v[22:23], 4, v[132:133]
	v_add_nc_u32_e32 v132, 0xa32, v128
	v_add_co_u32 v18, vcc_lo, v0, v18
	v_add_co_ci_u32_e32 v19, vcc_lo, v1, v19, vcc_lo
	s_delay_alu instid0(VALU_DEP_3) | instskip(SKIP_2) | instid1(VALU_DEP_3)
	v_lshlrev_b64 v[24:25], 4, v[132:133]
	v_add_co_u32 v22, vcc_lo, v0, v22
	v_add_co_ci_u32_e32 v23, vcc_lo, v1, v23, vcc_lo
	v_add_co_u32 v24, vcc_lo, v0, v24
	s_delay_alu instid0(VALU_DEP_4)
	v_add_co_ci_u32_e32 v25, vcc_lo, v1, v25, vcc_lo
	v_cmp_eq_u32_e32 vcc_lo, 0x59, v128
	s_waitcnt lgkmcnt(2)
	global_store_b128 v[20:21], v[2:5], off
	s_waitcnt lgkmcnt(1)
	global_store_b128 v[18:19], v[6:9], off
	s_waitcnt lgkmcnt(0)
	s_clause 0x1
	global_store_b128 v[22:23], v[10:13], off
	global_store_b128 v[24:25], v[14:17], off
	s_and_b32 exec_lo, exec_lo, vcc_lo
	s_cbranch_execz .LBB0_20
; %bb.19:
	v_mov_b32_e32 v2, 0
	v_add_co_u32 v0, vcc_lo, 0xa000, v0
	v_add_co_ci_u32_e32 v1, vcc_lo, 0, v1, vcc_lo
	ds_load_b128 v[2:5], v2 offset:43200
	s_waitcnt lgkmcnt(0)
	global_store_b128 v[0:1], v[2:5], off offset:2240
.LBB0_20:
	s_nop 0
	s_sendmsg sendmsg(MSG_DEALLOC_VGPRS)
	s_endpgm
	.section	.rodata,"a",@progbits
	.p2align	6, 0x0
	.amdhsa_kernel fft_rtc_back_len2700_factors_3_10_10_3_3_wgs_90_tpt_90_halfLds_dp_op_CI_CI_unitstride_sbrr_R2C_dirReg
		.amdhsa_group_segment_fixed_size 0
		.amdhsa_private_segment_fixed_size 0
		.amdhsa_kernarg_size 104
		.amdhsa_user_sgpr_count 15
		.amdhsa_user_sgpr_dispatch_ptr 0
		.amdhsa_user_sgpr_queue_ptr 0
		.amdhsa_user_sgpr_kernarg_segment_ptr 1
		.amdhsa_user_sgpr_dispatch_id 0
		.amdhsa_user_sgpr_private_segment_size 0
		.amdhsa_wavefront_size32 1
		.amdhsa_uses_dynamic_stack 0
		.amdhsa_enable_private_segment 0
		.amdhsa_system_sgpr_workgroup_id_x 1
		.amdhsa_system_sgpr_workgroup_id_y 0
		.amdhsa_system_sgpr_workgroup_id_z 0
		.amdhsa_system_sgpr_workgroup_info 0
		.amdhsa_system_vgpr_workitem_id 0
		.amdhsa_next_free_vgpr 247
		.amdhsa_next_free_sgpr 27
		.amdhsa_reserve_vcc 1
		.amdhsa_float_round_mode_32 0
		.amdhsa_float_round_mode_16_64 0
		.amdhsa_float_denorm_mode_32 3
		.amdhsa_float_denorm_mode_16_64 3
		.amdhsa_dx10_clamp 1
		.amdhsa_ieee_mode 1
		.amdhsa_fp16_overflow 0
		.amdhsa_workgroup_processor_mode 1
		.amdhsa_memory_ordered 1
		.amdhsa_forward_progress 0
		.amdhsa_shared_vgpr_count 0
		.amdhsa_exception_fp_ieee_invalid_op 0
		.amdhsa_exception_fp_denorm_src 0
		.amdhsa_exception_fp_ieee_div_zero 0
		.amdhsa_exception_fp_ieee_overflow 0
		.amdhsa_exception_fp_ieee_underflow 0
		.amdhsa_exception_fp_ieee_inexact 0
		.amdhsa_exception_int_div_zero 0
	.end_amdhsa_kernel
	.text
.Lfunc_end0:
	.size	fft_rtc_back_len2700_factors_3_10_10_3_3_wgs_90_tpt_90_halfLds_dp_op_CI_CI_unitstride_sbrr_R2C_dirReg, .Lfunc_end0-fft_rtc_back_len2700_factors_3_10_10_3_3_wgs_90_tpt_90_halfLds_dp_op_CI_CI_unitstride_sbrr_R2C_dirReg
                                        ; -- End function
	.section	.AMDGPU.csdata,"",@progbits
; Kernel info:
; codeLenInByte = 27692
; NumSgprs: 29
; NumVgprs: 247
; ScratchSize: 0
; MemoryBound: 0
; FloatMode: 240
; IeeeMode: 1
; LDSByteSize: 0 bytes/workgroup (compile time only)
; SGPRBlocks: 3
; VGPRBlocks: 30
; NumSGPRsForWavesPerEU: 29
; NumVGPRsForWavesPerEU: 247
; Occupancy: 5
; WaveLimiterHint : 1
; COMPUTE_PGM_RSRC2:SCRATCH_EN: 0
; COMPUTE_PGM_RSRC2:USER_SGPR: 15
; COMPUTE_PGM_RSRC2:TRAP_HANDLER: 0
; COMPUTE_PGM_RSRC2:TGID_X_EN: 1
; COMPUTE_PGM_RSRC2:TGID_Y_EN: 0
; COMPUTE_PGM_RSRC2:TGID_Z_EN: 0
; COMPUTE_PGM_RSRC2:TIDIG_COMP_CNT: 0
	.text
	.p2alignl 7, 3214868480
	.fill 96, 4, 3214868480
	.type	__hip_cuid_d0f0882e81f8c345,@object ; @__hip_cuid_d0f0882e81f8c345
	.section	.bss,"aw",@nobits
	.globl	__hip_cuid_d0f0882e81f8c345
__hip_cuid_d0f0882e81f8c345:
	.byte	0                               ; 0x0
	.size	__hip_cuid_d0f0882e81f8c345, 1

	.ident	"AMD clang version 19.0.0git (https://github.com/RadeonOpenCompute/llvm-project roc-6.4.0 25133 c7fe45cf4b819c5991fe208aaa96edf142730f1d)"
	.section	".note.GNU-stack","",@progbits
	.addrsig
	.addrsig_sym __hip_cuid_d0f0882e81f8c345
	.amdgpu_metadata
---
amdhsa.kernels:
  - .args:
      - .actual_access:  read_only
        .address_space:  global
        .offset:         0
        .size:           8
        .value_kind:     global_buffer
      - .offset:         8
        .size:           8
        .value_kind:     by_value
      - .actual_access:  read_only
        .address_space:  global
        .offset:         16
        .size:           8
        .value_kind:     global_buffer
      - .actual_access:  read_only
        .address_space:  global
        .offset:         24
        .size:           8
        .value_kind:     global_buffer
      - .actual_access:  read_only
        .address_space:  global
        .offset:         32
        .size:           8
        .value_kind:     global_buffer
      - .offset:         40
        .size:           8
        .value_kind:     by_value
      - .actual_access:  read_only
        .address_space:  global
        .offset:         48
        .size:           8
        .value_kind:     global_buffer
      - .actual_access:  read_only
        .address_space:  global
        .offset:         56
        .size:           8
        .value_kind:     global_buffer
      - .offset:         64
        .size:           4
        .value_kind:     by_value
      - .actual_access:  read_only
        .address_space:  global
        .offset:         72
        .size:           8
        .value_kind:     global_buffer
      - .actual_access:  read_only
        .address_space:  global
        .offset:         80
        .size:           8
        .value_kind:     global_buffer
      - .actual_access:  read_only
        .address_space:  global
        .offset:         88
        .size:           8
        .value_kind:     global_buffer
      - .actual_access:  write_only
        .address_space:  global
        .offset:         96
        .size:           8
        .value_kind:     global_buffer
    .group_segment_fixed_size: 0
    .kernarg_segment_align: 8
    .kernarg_segment_size: 104
    .language:       OpenCL C
    .language_version:
      - 2
      - 0
    .max_flat_workgroup_size: 90
    .name:           fft_rtc_back_len2700_factors_3_10_10_3_3_wgs_90_tpt_90_halfLds_dp_op_CI_CI_unitstride_sbrr_R2C_dirReg
    .private_segment_fixed_size: 0
    .sgpr_count:     29
    .sgpr_spill_count: 0
    .symbol:         fft_rtc_back_len2700_factors_3_10_10_3_3_wgs_90_tpt_90_halfLds_dp_op_CI_CI_unitstride_sbrr_R2C_dirReg.kd
    .uniform_work_group_size: 1
    .uses_dynamic_stack: false
    .vgpr_count:     247
    .vgpr_spill_count: 0
    .wavefront_size: 32
    .workgroup_processor_mode: 1
amdhsa.target:   amdgcn-amd-amdhsa--gfx1100
amdhsa.version:
  - 1
  - 2
...

	.end_amdgpu_metadata
